;; amdgpu-corpus repo=ROCm/rocFFT kind=compiled arch=gfx906 opt=O3
	.text
	.amdgcn_target "amdgcn-amd-amdhsa--gfx906"
	.amdhsa_code_object_version 6
	.protected	bluestein_single_fwd_len3000_dim1_sp_op_CI_CI ; -- Begin function bluestein_single_fwd_len3000_dim1_sp_op_CI_CI
	.globl	bluestein_single_fwd_len3000_dim1_sp_op_CI_CI
	.p2align	8
	.type	bluestein_single_fwd_len3000_dim1_sp_op_CI_CI,@function
bluestein_single_fwd_len3000_dim1_sp_op_CI_CI: ; @bluestein_single_fwd_len3000_dim1_sp_op_CI_CI
; %bb.0:
	s_load_dwordx4 s[12:15], s[4:5], 0x28
	s_mov_b64 s[26:27], s[2:3]
	v_mul_u32_u24_e32 v3, 0x290, v0
	s_mov_b64 s[24:25], s[0:1]
	v_add_u32_sdwa v1, s6, v3 dst_sel:DWORD dst_unused:UNUSED_PAD src0_sel:DWORD src1_sel:WORD_1
	v_mov_b32_e32 v2, 0
	s_add_u32 s24, s24, s7
	s_waitcnt lgkmcnt(0)
	v_cmp_gt_u64_e32 vcc, s[12:13], v[1:2]
	s_addc_u32 s25, s25, 0
	s_and_saveexec_b64 s[0:1], vcc
	s_cbranch_execz .LBB0_2
; %bb.1:
	s_load_dwordx4 s[8:11], s[4:5], 0x0
	s_load_dwordx4 s[20:23], s[4:5], 0x18
	s_load_dwordx2 s[12:13], s[4:5], 0x38
	s_movk_i32 s16, 0x64
	v_mul_lo_u16_sdwa v2, v3, s16 dst_sel:DWORD dst_unused:UNUSED_PAD src0_sel:WORD_1 src1_sel:DWORD
	v_sub_u16_e32 v227, v0, v2
	s_waitcnt lgkmcnt(0)
	s_load_dwordx4 s[0:3], s[22:23], 0x0
	v_lshlrev_b32_e32 v249, 3, v227
	v_mov_b32_e32 v30, 0xffffaec0
	v_add_u32_e32 v247, 0x3800, v249
                                        ; kill: killed $sgpr8_sgpr9
	s_waitcnt lgkmcnt(0)
	v_mad_u64_u32 v[4:5], s[4:5], s2, v1, 0
	v_mov_b32_e32 v0, v5
	v_mad_u64_u32 v[2:3], s[2:3], s3, v1, v[0:1]
	v_mov_b32_e32 v5, v2
	buffer_store_dword v4, off, s[24:27], 0 offset:152 ; 4-byte Folded Spill
	s_nop 0
	buffer_store_dword v5, off, s[24:27], 0 offset:156 ; 4-byte Folded Spill
	s_load_dwordx4 s[4:7], s[20:21], 0x0
	global_load_dwordx2 v[233:234], v249, s[8:9]
	s_waitcnt lgkmcnt(0)
	v_mad_u64_u32 v[2:3], s[2:3], s6, v1, 0
	s_mul_hi_u32 s6, s4, 0x960
	v_mov_b32_e32 v0, v3
	v_mad_u64_u32 v[0:1], s[2:3], s7, v1, v[0:1]
	s_movk_i32 s7, 0x258
	v_mov_b32_e32 v3, v0
	v_mad_u64_u32 v[0:1], s[2:3], s4, v227, 0
	v_mad_u64_u32 v[4:5], s[2:3], s5, v227, v[1:2]
	v_lshlrev_b64 v[2:3], 3, v[2:3]
	s_movk_i32 s2, 0x12c
	v_mov_b32_e32 v1, v4
	v_add_co_u32_e32 v2, vcc, s14, v2
	v_mov_b32_e32 v4, s15
	v_lshlrev_b64 v[0:1], 3, v[0:1]
	v_addc_co_u32_e32 v3, vcc, v4, v3, vcc
	v_add_co_u32_e32 v0, vcc, v2, v0
	v_addc_co_u32_e32 v1, vcc, v3, v1, vcc
	global_load_dwordx2 v[2:3], v[0:1], off
	v_add_co_u32_e32 v198, vcc, s8, v249
	v_mov_b32_e32 v4, s9
	s_mul_i32 s3, s5, 0x960
	v_addc_co_u32_e32 v199, vcc, 0, v4, vcc
	v_add_co_u32_e32 v36, vcc, s2, v227
	s_add_i32 s3, s6, s3
	s_mul_i32 s6, s4, 0x960
	v_add_co_u32_e32 v0, vcc, s6, v0
	s_mulk_i32 s5, 0xaec0
	s_sub_i32 s5, s5, s4
	s_waitcnt vmcnt(0)
	v_mul_f32_e32 v6, v3, v234
	v_fmac_f32_e32 v6, v2, v233
	v_mul_f32_e32 v2, v2, v234
	v_fma_f32 v7, v3, v233, -v2
	v_mov_b32_e32 v2, s3
	v_addc_co_u32_e32 v1, vcc, v1, v2, vcc
	global_load_dwordx2 v[2:3], v[0:1], off
	global_load_dwordx2 v[235:236], v249, s[8:9] offset:2400
	v_add_co_u32_e32 v35, vcc, s7, v227
	v_add_co_u32_e32 v0, vcc, s6, v0
	s_movk_i32 s7, 0x1000
	s_waitcnt vmcnt(0)
	v_mul_f32_e32 v4, v3, v236
	v_fmac_f32_e32 v4, v2, v235
	v_mul_f32_e32 v2, v2, v236
	v_fma_f32 v5, v3, v235, -v2
	v_mov_b32_e32 v2, s3
	v_addc_co_u32_e32 v1, vcc, v1, v2, vcc
	v_add_co_u32_e32 v8, vcc, s7, v198
	v_addc_co_u32_e32 v9, vcc, 0, v199, vcc
	global_load_dwordx2 v[2:3], v[0:1], off
	global_load_dwordx2 v[237:238], v[8:9], off offset:704
	ds_write_b64 v249, v[4:5] offset:2400
	s_movk_i32 s7, 0x384
	v_add_co_u32_e32 v34, vcc, s7, v227
	v_add_co_u32_e32 v0, vcc, s6, v0
	s_movk_i32 s7, 0x2000
                                        ; kill: killed $vgpr8 killed $vgpr9
	s_waitcnt vmcnt(0)
	v_mul_f32_e32 v4, v3, v238
	v_fmac_f32_e32 v4, v2, v237
	v_mul_f32_e32 v2, v2, v238
	v_fma_f32 v5, v3, v237, -v2
	v_mov_b32_e32 v2, s3
	ds_write_b64 v249, v[4:5] offset:4800
	v_addc_co_u32_e32 v1, vcc, v1, v2, vcc
	global_load_dwordx2 v[2:3], v[0:1], off
	global_load_dwordx2 v[241:242], v[8:9], off offset:3104
	v_add_co_u32_e32 v0, vcc, s6, v0
	s_waitcnt vmcnt(0)
	v_mul_f32_e32 v4, v3, v242
	v_fmac_f32_e32 v4, v2, v241
	v_mul_f32_e32 v2, v2, v242
	v_fma_f32 v5, v3, v241, -v2
	v_mov_b32_e32 v2, s3
	v_addc_co_u32_e32 v1, vcc, v1, v2, vcc
	ds_write_b64 v249, v[4:5] offset:7200
	v_add_co_u32_e32 v4, vcc, s7, v198
	v_addc_co_u32_e32 v5, vcc, 0, v199, vcc
	global_load_dwordx2 v[2:3], v[0:1], off
	global_load_dwordx2 v[239:240], v[4:5], off offset:1408
	v_add_co_u32_e32 v0, vcc, s6, v0
	s_movk_i32 s7, 0x3000
                                        ; kill: killed $vgpr4 killed $vgpr5
	s_waitcnt vmcnt(0)
	v_mul_f32_e32 v10, v3, v240
	v_fmac_f32_e32 v10, v2, v239
	v_mul_f32_e32 v2, v2, v240
	v_fma_f32 v11, v3, v239, -v2
	v_mov_b32_e32 v2, s3
	ds_write_b64 v249, v[10:11] offset:9600
	v_addc_co_u32_e32 v1, vcc, v1, v2, vcc
	global_load_dwordx2 v[2:3], v[0:1], off
	global_load_dwordx2 v[245:246], v[4:5], off offset:3808
	v_add_co_u32_e32 v0, vcc, s6, v0
	s_waitcnt vmcnt(0)
	v_mul_f32_e32 v10, v3, v246
	v_fmac_f32_e32 v10, v2, v245
	v_mul_f32_e32 v2, v2, v246
	v_fma_f32 v11, v3, v245, -v2
	v_mov_b32_e32 v2, s3
	v_addc_co_u32_e32 v1, vcc, v1, v2, vcc
	v_add_co_u32_e32 v2, vcc, s7, v198
	v_addc_co_u32_e32 v3, vcc, 0, v199, vcc
	ds_write_b64 v249, v[10:11] offset:12000
	global_load_dwordx2 v[10:11], v[0:1], off
	global_load_dwordx2 v[250:251], v[2:3], off offset:2112
	s_movk_i32 s7, 0x4000
                                        ; kill: killed $vgpr2 killed $vgpr3
	s_waitcnt vmcnt(0)
	v_mul_f32_e32 v12, v11, v251
	v_fmac_f32_e32 v12, v10, v250
	v_mul_f32_e32 v10, v10, v251
	v_fma_f32 v13, v11, v250, -v10
	v_add_co_u32_e32 v10, vcc, s6, v0
	v_mov_b32_e32 v0, s3
	v_addc_co_u32_e32 v11, vcc, v1, v0, vcc
	v_add_co_u32_e32 v0, vcc, s7, v198
	v_addc_co_u32_e32 v1, vcc, 0, v199, vcc
	ds_write_b64 v249, v[12:13] offset:14400
	global_load_dwordx2 v[12:13], v[10:11], off
	global_load_dwordx2 v[252:253], v[0:1], off offset:416
	v_add_co_u32_e32 v10, vcc, s6, v10
	s_movk_i32 s7, 0x5000
                                        ; kill: killed $vgpr0 killed $vgpr1
	s_waitcnt vmcnt(0)
	v_mul_f32_e32 v14, v13, v253
	v_fmac_f32_e32 v14, v12, v252
	v_mul_f32_e32 v12, v12, v253
	v_fma_f32 v15, v13, v252, -v12
	v_mov_b32_e32 v12, s3
	ds_write_b64 v249, v[14:15] offset:16800
	v_addc_co_u32_e32 v11, vcc, v11, v12, vcc
	global_load_dwordx2 v[12:13], v[10:11], off
	global_load_dwordx2 v[15:16], v[0:1], off offset:2816
	v_add_co_u32_e32 v10, vcc, s6, v10
	s_waitcnt vmcnt(0)
	buffer_store_dword v15, off, s[24:27], 0 offset:96 ; 4-byte Folded Spill
	s_nop 0
	buffer_store_dword v16, off, s[24:27], 0 offset:100 ; 4-byte Folded Spill
	v_mul_f32_e32 v14, v13, v16
	v_fmac_f32_e32 v14, v12, v15
	v_mul_f32_e32 v12, v12, v16
	v_fma_f32 v15, v13, v15, -v12
	v_mov_b32_e32 v12, s3
	v_addc_co_u32_e32 v11, vcc, v11, v12, vcc
	v_add_co_u32_e32 v152, vcc, s7, v198
	v_addc_co_u32_e32 v153, vcc, 0, v199, vcc
	ds_write_b64 v249, v[14:15] offset:19200
	global_load_dwordx2 v[15:16], v[152:153], off offset:1120
	global_load_dwordx2 v[12:13], v[10:11], off
	s_movk_i32 s7, 0x190
	v_add_co_u32_e32 v32, vcc, s16, v227
	v_add_co_u32_e32 v38, vcc, s7, v227
	s_movk_i32 s7, 0x2bc
	s_waitcnt vmcnt(1)
	buffer_store_dword v15, off, s[24:27], 0 offset:80 ; 4-byte Folded Spill
	s_nop 0
	buffer_store_dword v16, off, s[24:27], 0 offset:84 ; 4-byte Folded Spill
	s_waitcnt vmcnt(2)
	v_mul_f32_e32 v14, v13, v16
	v_fmac_f32_e32 v14, v12, v15
	v_mul_f32_e32 v12, v12, v16
	v_fma_f32 v15, v13, v15, -v12
	v_mov_b32_e32 v12, 0xffffaec0
	v_mad_u64_u32 v[10:11], s[14:15], s4, v12, v[10:11]
	ds_write_b64 v249, v[14:15] offset:21600
	v_add_u32_e32 v11, s5, v11
	global_load_dwordx2 v[12:13], v[10:11], off
	global_load_dwordx2 v[243:244], v249, s[8:9] offset:800
	s_waitcnt vmcnt(0)
	v_mul_f32_e32 v14, v13, v244
	v_fmac_f32_e32 v14, v12, v243
	v_mul_f32_e32 v12, v12, v244
	v_fma_f32 v15, v13, v243, -v12
	ds_write2_b64 v249, v[6:7], v[14:15] offset1:100
	v_add_co_u32_e32 v6, vcc, s6, v10
	v_mov_b32_e32 v7, s3
	v_addc_co_u32_e32 v7, vcc, v11, v7, vcc
	global_load_dwordx2 v[10:11], v[6:7], off
	global_load_dwordx2 v[12:13], v249, s[8:9] offset:3200
	v_add_co_u32_e32 v37, vcc, s7, v227
	v_add_co_u32_e32 v6, vcc, s6, v6
	s_movk_i32 s7, 0xc8
	s_waitcnt vmcnt(0)
	buffer_store_dword v12, off, s[24:27], 0 offset:144 ; 4-byte Folded Spill
	s_nop 0
	buffer_store_dword v13, off, s[24:27], 0 offset:148 ; 4-byte Folded Spill
	v_mul_f32_e32 v16, v11, v13
	v_fmac_f32_e32 v16, v10, v12
	v_mul_f32_e32 v10, v10, v13
	v_fma_f32 v17, v11, v12, -v10
	v_mov_b32_e32 v10, s3
	v_addc_co_u32_e32 v7, vcc, v7, v10, vcc
	global_load_dwordx2 v[10:11], v[6:7], off
	global_load_dwordx2 v[12:13], v[8:9], off offset:1504
	v_add_co_u32_e32 v6, vcc, s6, v6
	s_waitcnt vmcnt(0)
	buffer_store_dword v12, off, s[24:27], 0 offset:104 ; 4-byte Folded Spill
	s_nop 0
	buffer_store_dword v13, off, s[24:27], 0 offset:108 ; 4-byte Folded Spill
	v_mul_f32_e32 v18, v11, v13
	v_fmac_f32_e32 v18, v10, v12
	v_mul_f32_e32 v10, v10, v13
	v_fma_f32 v19, v11, v12, -v10
	v_mov_b32_e32 v10, s3
	v_addc_co_u32_e32 v7, vcc, v7, v10, vcc
	global_load_dwordx2 v[10:11], v[6:7], off
	global_load_dwordx2 v[12:13], v[8:9], off offset:3904
	v_add_co_u32_e32 v6, vcc, s6, v6
	;; [unrolled: 13-line block ×4, first 2 shown]
	s_waitcnt vmcnt(0)
	buffer_store_dword v12, off, s[24:27], 0 offset:88 ; 4-byte Folded Spill
	s_nop 0
	buffer_store_dword v13, off, s[24:27], 0 offset:92 ; 4-byte Folded Spill
	v_mul_f32_e32 v22, v11, v13
	v_fmac_f32_e32 v22, v10, v12
	v_mul_f32_e32 v10, v10, v13
	v_fma_f32 v23, v11, v12, -v10
	v_mov_b32_e32 v10, s3
	v_addc_co_u32_e32 v7, vcc, v7, v10, vcc
	global_load_dwordx2 v[10:11], v[6:7], off
	global_load_dwordx2 v[12:13], v[2:3], off offset:2912
	s_waitcnt vmcnt(0)
	buffer_store_dword v12, off, s[24:27], 0 offset:32 ; 4-byte Folded Spill
	s_nop 0
	buffer_store_dword v13, off, s[24:27], 0 offset:36 ; 4-byte Folded Spill
	v_add_co_u32_e32 v6, vcc, s6, v6
	v_mul_f32_e32 v24, v11, v13
	v_fmac_f32_e32 v24, v10, v12
	v_mul_f32_e32 v10, v10, v13
	v_fma_f32 v25, v11, v12, -v10
	v_mov_b32_e32 v10, s3
	v_addc_co_u32_e32 v7, vcc, v7, v10, vcc
	global_load_dwordx2 v[10:11], v[6:7], off
	global_load_dwordx2 v[26:27], v[0:1], off offset:1216
	s_waitcnt vmcnt(0)
	buffer_store_dword v26, off, s[24:27], 0 offset:16 ; 4-byte Folded Spill
	s_nop 0
	buffer_store_dword v27, off, s[24:27], 0 offset:20 ; 4-byte Folded Spill
	v_add_co_u32_e32 v6, vcc, s6, v6
	v_mul_f32_e32 v12, v11, v27
	v_fmac_f32_e32 v12, v10, v26
	v_mul_f32_e32 v10, v10, v27
	v_fma_f32 v13, v11, v26, -v10
	v_mov_b32_e32 v10, s3
	v_addc_co_u32_e32 v7, vcc, v7, v10, vcc
	global_load_dwordx2 v[26:27], v[6:7], off
	global_load_dwordx2 v[28:29], v[0:1], off offset:3616
	s_waitcnt vmcnt(0)
	buffer_store_dword v28, off, s[24:27], 0 offset:8 ; 4-byte Folded Spill
	s_nop 0
	buffer_store_dword v29, off, s[24:27], 0 offset:12 ; 4-byte Folded Spill
	v_mul_f32_e32 v10, v27, v29
	v_fmac_f32_e32 v10, v26, v28
	v_mul_f32_e32 v11, v26, v29
	v_add_co_u32_e32 v26, vcc, s6, v6
	v_mov_b32_e32 v6, s3
	v_fma_f32 v11, v27, v28, -v11
	v_addc_co_u32_e32 v27, vcc, v7, v6, vcc
	global_load_dwordx2 v[28:29], v[26:27], off
	global_load_dwordx2 v[39:40], v[152:153], off offset:1920
	s_waitcnt vmcnt(0)
	buffer_store_dword v39, off, s[24:27], 0 ; 4-byte Folded Spill
	s_nop 0
	buffer_store_dword v40, off, s[24:27], 0 offset:4 ; 4-byte Folded Spill
	v_mad_u64_u32 v[26:27], s[14:15], s4, v30, v[26:27]
	s_movk_i32 s4, 0x1f4
	v_add_co_u32_e32 v33, vcc, s7, v227
	v_add_u32_e32 v27, s5, v27
	v_mul_f32_e32 v6, v29, v40
	v_mul_f32_e32 v7, v28, v40
	v_fmac_f32_e32 v6, v28, v39
	v_fma_f32 v7, v29, v39, -v7
	global_load_dwordx2 v[28:29], v[26:27], off
	global_load_dwordx2 v[39:40], v249, s[8:9] offset:1600
	s_waitcnt vmcnt(0)
	buffer_store_dword v39, off, s[24:27], 0 offset:64 ; 4-byte Folded Spill
	s_nop 0
	buffer_store_dword v40, off, s[24:27], 0 offset:68 ; 4-byte Folded Spill
	v_mul_f32_e32 v30, v29, v40
	v_fmac_f32_e32 v30, v28, v39
	v_mul_f32_e32 v28, v28, v40
	v_add_co_u32_e32 v40, vcc, s4, v227
	v_fma_f32 v31, v29, v39, -v28
	v_add_co_u32_e32 v26, vcc, s6, v26
	v_mov_b32_e32 v28, s3
	ds_write_b64 v249, v[30:31] offset:1600
	v_addc_co_u32_e32 v27, vcc, v27, v28, vcc
	global_load_dwordx2 v[28:29], v[26:27], off
	global_load_dwordx2 v[41:42], v249, s[8:9] offset:4000
	s_waitcnt vmcnt(0)
	buffer_store_dword v41, off, s[24:27], 0 offset:48 ; 4-byte Folded Spill
	s_nop 0
	buffer_store_dword v42, off, s[24:27], 0 offset:52 ; 4-byte Folded Spill
	s_movk_i32 s4, 0x320
	v_add_co_u32_e32 v39, vcc, s4, v227
	v_mul_f32_e32 v30, v29, v42
	v_fmac_f32_e32 v30, v28, v41
	v_mul_f32_e32 v28, v28, v42
	v_fma_f32 v31, v29, v41, -v28
	v_add_u32_e32 v28, 0x800, v249
	ds_write2_b64 v28, v[16:17], v[30:31] offset0:144 offset1:244
	v_add_co_u32_e32 v16, vcc, s6, v26
	v_mov_b32_e32 v17, s3
	v_addc_co_u32_e32 v17, vcc, v27, v17, vcc
	v_mov_b32_e32 v70, v28
	global_load_dwordx2 v[26:27], v[16:17], off
	global_load_dwordx2 v[28:29], v[8:9], off offset:2304
	s_waitcnt vmcnt(0)
	buffer_store_dword v28, off, s[24:27], 0 offset:56 ; 4-byte Folded Spill
	s_nop 0
	buffer_store_dword v29, off, s[24:27], 0 offset:60 ; 4-byte Folded Spill
	v_mov_b32_e32 v84, v70
	v_mov_b32_e32 v141, v84
	;; [unrolled: 1-line block ×3, first 2 shown]
	v_mul_f32_e32 v8, v27, v29
	v_mul_f32_e32 v9, v26, v29
	v_fmac_f32_e32 v8, v26, v28
	v_fma_f32 v9, v27, v28, -v9
	v_add_u32_e32 v26, 0x1400, v249
	ds_write2_b64 v26, v[18:19], v[8:9] offset0:60 offset1:160
	v_add_co_u32_e32 v8, vcc, s6, v16
	v_mov_b32_e32 v9, s3
	v_addc_co_u32_e32 v9, vcc, v17, v9, vcc
	global_load_dwordx2 v[16:17], v[8:9], off
	global_load_dwordx2 v[26:27], v[4:5], off offset:608
	s_waitcnt vmcnt(0)
	buffer_store_dword v26, off, s[24:27], 0 offset:40 ; 4-byte Folded Spill
	s_nop 0
	buffer_store_dword v27, off, s[24:27], 0 offset:44 ; 4-byte Folded Spill
	v_add_co_u32_e32 v8, vcc, s6, v8
	v_mul_f32_e32 v18, v17, v27
	v_fmac_f32_e32 v18, v16, v26
	v_mul_f32_e32 v16, v16, v27
	v_fma_f32 v19, v17, v26, -v16
	v_add_u32_e32 v16, 0x1c00, v249
	ds_write2_b64 v16, v[20:21], v[18:19] offset0:104 offset1:204
	v_mov_b32_e32 v232, v16
	v_mov_b32_e32 v16, s3
	v_addc_co_u32_e32 v9, vcc, v9, v16, vcc
	global_load_dwordx2 v[16:17], v[8:9], off
	global_load_dwordx2 v[18:19], v[4:5], off offset:3008
	s_waitcnt vmcnt(0)
	buffer_store_dword v18, off, s[24:27], 0 offset:128 ; 4-byte Folded Spill
	s_nop 0
	buffer_store_dword v19, off, s[24:27], 0 offset:132 ; 4-byte Folded Spill
	v_mov_b32_e32 v193, v232
	v_mul_f32_e32 v4, v17, v19
	v_mul_f32_e32 v5, v16, v19
	v_fmac_f32_e32 v4, v16, v18
	v_fma_f32 v5, v17, v18, -v5
	v_add_u32_e32 v16, 0x2800, v249
	ds_write2_b64 v16, v[14:15], v[4:5] offset0:20 offset1:120
	v_add_co_u32_e32 v4, vcc, s6, v8
	v_mov_b32_e32 v5, s3
	v_addc_co_u32_e32 v5, vcc, v9, v5, vcc
	v_mov_b32_e32 v17, v16
	global_load_dwordx2 v[8:9], v[4:5], off
	global_load_dwordx2 v[15:16], v[2:3], off offset:1312
	s_waitcnt vmcnt(0)
	buffer_store_dword v15, off, s[24:27], 0 offset:168 ; 4-byte Folded Spill
	s_nop 0
	buffer_store_dword v16, off, s[24:27], 0 offset:172 ; 4-byte Folded Spill
	v_add_co_u32_e32 v4, vcc, s6, v4
	v_mov_b32_e32 v95, v17
	v_mov_b32_e32 v140, v95
	v_mov_b32_e32 v192, v140
	v_mul_f32_e32 v14, v9, v16
	v_fmac_f32_e32 v14, v8, v15
	v_mul_f32_e32 v8, v8, v16
	v_fma_f32 v15, v9, v15, -v8
	v_add_u32_e32 v8, 0x3000, v249
	ds_write2_b64 v8, v[22:23], v[14:15] offset0:64 offset1:164
	v_mov_b32_e32 v16, v8
	v_mov_b32_e32 v8, s3
	v_addc_co_u32_e32 v5, vcc, v5, v8, vcc
	global_load_dwordx2 v[8:9], v[4:5], off
	global_load_dwordx2 v[14:15], v[2:3], off offset:3712
	s_waitcnt vmcnt(0)
	buffer_store_dword v14, off, s[24:27], 0 offset:120 ; 4-byte Folded Spill
	s_nop 0
	buffer_store_dword v15, off, s[24:27], 0 offset:124 ; 4-byte Folded Spill
	v_mov_b32_e32 v94, v16
	v_mov_b32_e32 v139, v94
	;; [unrolled: 1-line block ×3, first 2 shown]
	v_mul_f32_e32 v2, v9, v15
	v_mul_f32_e32 v3, v8, v15
	v_fmac_f32_e32 v2, v8, v14
	v_fma_f32 v3, v9, v14, -v3
	ds_write2_b64 v247, v[24:25], v[2:3] offset0:108 offset1:208
	v_add_co_u32_e32 v2, vcc, s6, v4
	v_mov_b32_e32 v3, s3
	v_addc_co_u32_e32 v3, vcc, v5, v3, vcc
	global_load_dwordx2 v[4:5], v[2:3], off
	global_load_dwordx2 v[8:9], v[0:1], off offset:2016
	s_waitcnt vmcnt(0)
	buffer_store_dword v8, off, s[24:27], 0 offset:136 ; 4-byte Folded Spill
	s_nop 0
	buffer_store_dword v9, off, s[24:27], 0 offset:140 ; 4-byte Folded Spill
	v_mul_f32_e32 v0, v5, v9
	v_mul_f32_e32 v1, v4, v9
	v_fmac_f32_e32 v0, v4, v8
	v_fma_f32 v1, v5, v8, -v1
	v_add_u32_e32 v4, 0x4000, v249
	ds_write2_b64 v4, v[12:13], v[0:1] offset0:152 offset1:252
	v_add_co_u32_e32 v0, vcc, s6, v2
	v_mov_b32_e32 v1, s3
	v_addc_co_u32_e32 v1, vcc, v3, v1, vcc
	global_load_dwordx2 v[2:3], v[0:1], off
	global_load_dwordx2 v[8:9], v[152:153], off offset:320
	s_waitcnt vmcnt(0)
	buffer_store_dword v8, off, s[24:27], 0 offset:112 ; 4-byte Folded Spill
	s_nop 0
	buffer_store_dword v9, off, s[24:27], 0 offset:116 ; 4-byte Folded Spill
	v_mov_b32_e32 v20, v4
	v_add_co_u32_e32 v0, vcc, s6, v0
	v_mov_b32_e32 v93, v20
	v_mov_b32_e32 v138, v93
	s_movk_i32 s6, 0x89
	v_mov_b32_e32 v195, v138
	v_mul_f32_e32 v4, v3, v9
	v_fmac_f32_e32 v4, v2, v8
	v_mul_f32_e32 v2, v2, v9
	v_fma_f32 v5, v3, v8, -v2
	v_add_u32_e32 v2, 0x4c00, v249
	ds_write2_b64 v2, v[10:11], v[4:5] offset0:68 offset1:168
	v_mov_b32_e32 v2, s3
	v_addc_co_u32_e32 v1, vcc, v1, v2, vcc
	global_load_dwordx2 v[2:3], v[0:1], off
	global_load_dwordx2 v[4:5], v[152:153], off offset:2720
	s_waitcnt vmcnt(0)
	buffer_store_dword v4, off, s[24:27], 0 offset:160 ; 4-byte Folded Spill
	s_nop 0
	buffer_store_dword v5, off, s[24:27], 0 offset:164 ; 4-byte Folded Spill
                                        ; kill: killed $vgpr0 killed $vgpr1
	s_movk_i32 s3, 0xcd
	v_mul_f32_e32 v0, v3, v5
	v_mul_f32_e32 v1, v2, v5
	v_fmac_f32_e32 v0, v2, v4
	v_fma_f32 v1, v3, v4, -v1
	v_add_u32_e32 v2, 0x5400, v249
	v_add_u32_e32 v4, 0x400, v249
	ds_write2_b64 v2, v[6:7], v[0:1] offset0:112 offset1:212
	v_mov_b32_e32 v69, v2
	s_waitcnt vmcnt(0) lgkmcnt(0)
	s_barrier
	ds_read2_b64 v[0:3], v4 offset0:72 offset1:172
	v_mov_b32_e32 v91, v4
	v_add_u32_e32 v4, 0x1000, v249
	ds_read2_b64 v[45:48], v4 offset0:88 offset1:188
	v_mov_b32_e32 v90, v4
	v_add_u32_e32 v4, 0x1800, v249
	ds_read2_b64 v[41:44], v249 offset1:100
	ds_read2_b64 v[24:27], v4 offset0:32 offset1:132
	v_mov_b32_e32 v89, v4
	v_add_u32_e32 v4, 0x2400, v249
	ds_read2_b64 v[49:52], v4 offset0:48 offset1:148
	v_mov_b32_e32 v88, v4
	v_add_u32_e32 v4, 0x3c00, v249
	ds_read2_b64 v[53:56], v247 offset0:8 offset1:108
	ds_read2_b64 v[57:60], v4 offset0:80 offset1:180
	v_mov_b32_e32 v87, v4
	v_add_u32_e32 v4, 0x4800, v249
	ds_read2_b64 v[61:64], v4 offset0:96 offset1:196
	v_mov_b32_e32 v85, v4
	v_add_u32_e32 v4, 0x5000, v249
	ds_read2_b64 v[28:31], v17 offset0:120 offset1:220
	ds_read2_b64 v[65:68], v4 offset0:40 offset1:140
	v_mov_b32_e32 v86, v4
	ds_read2_b64 v[4:7], v70 offset0:144 offset1:244
	ds_read2_b64 v[8:11], v232 offset0:104 offset1:204
	;; [unrolled: 1-line block ×5, first 2 shown]
	v_mov_b32_e32 v92, v69
	s_waitcnt lgkmcnt(12)
	v_add_f32_e32 v69, v41, v45
	s_waitcnt lgkmcnt(10)
	v_add_f32_e32 v69, v69, v49
	;; [unrolled: 2-line block ×4, first 2 shown]
	v_add_f32_e32 v69, v49, v53
	v_fma_f32 v74, -0.5, v69, v41
	v_sub_f32_e32 v69, v46, v62
	v_mov_b32_e32 v75, v74
	v_fmac_f32_e32 v75, 0x3f737871, v69
	v_sub_f32_e32 v70, v50, v54
	v_sub_f32_e32 v71, v45, v49
	;; [unrolled: 1-line block ×3, first 2 shown]
	v_fmac_f32_e32 v74, 0xbf737871, v69
	v_fmac_f32_e32 v75, 0x3f167918, v70
	v_add_f32_e32 v71, v71, v72
	v_fmac_f32_e32 v74, 0xbf167918, v70
	v_fmac_f32_e32 v75, 0x3e9e377a, v71
	;; [unrolled: 1-line block ×3, first 2 shown]
	v_add_f32_e32 v71, v45, v61
	v_fma_f32 v41, -0.5, v71, v41
	v_mov_b32_e32 v76, v41
	v_fmac_f32_e32 v76, 0xbf737871, v70
	v_fmac_f32_e32 v41, 0x3f737871, v70
	;; [unrolled: 1-line block ×4, first 2 shown]
	v_add_f32_e32 v69, v42, v46
	v_add_f32_e32 v69, v69, v50
	;; [unrolled: 1-line block ×5, first 2 shown]
	v_fma_f32 v82, -0.5, v69, v42
	v_sub_f32_e32 v71, v49, v45
	v_sub_f32_e32 v45, v45, v61
	v_mov_b32_e32 v80, v82
	v_sub_f32_e32 v72, v53, v61
	v_fmac_f32_e32 v80, 0xbf737871, v45
	v_sub_f32_e32 v49, v49, v53
	v_sub_f32_e32 v53, v46, v50
	;; [unrolled: 1-line block ×3, first 2 shown]
	v_fmac_f32_e32 v82, 0x3f737871, v45
	v_fmac_f32_e32 v80, 0xbf167918, v49
	v_add_f32_e32 v53, v53, v61
	v_fmac_f32_e32 v82, 0x3f167918, v49
	v_fmac_f32_e32 v80, 0x3e9e377a, v53
	;; [unrolled: 1-line block ×3, first 2 shown]
	v_add_f32_e32 v53, v46, v62
	v_fma_f32 v42, -0.5, v53, v42
	v_mov_b32_e32 v53, v42
	v_fmac_f32_e32 v53, 0x3f737871, v49
	v_sub_f32_e32 v46, v50, v46
	v_sub_f32_e32 v50, v54, v62
	v_fmac_f32_e32 v42, 0xbf737871, v49
	v_fmac_f32_e32 v53, 0xbf167918, v45
	v_add_f32_e32 v46, v46, v50
	v_fmac_f32_e32 v42, 0x3f167918, v45
	v_fmac_f32_e32 v53, 0x3e9e377a, v46
	;; [unrolled: 1-line block ×3, first 2 shown]
	s_waitcnt lgkmcnt(6)
	v_add_f32_e32 v46, v30, v59
	v_fma_f32 v46, -0.5, v46, v2
	s_waitcnt lgkmcnt(5)
	v_sub_f32_e32 v49, v27, v68
	v_mov_b32_e32 v50, v46
	v_fmac_f32_e32 v50, 0x3f737871, v49
	v_sub_f32_e32 v54, v31, v60
	v_sub_f32_e32 v61, v26, v30
	;; [unrolled: 1-line block ×3, first 2 shown]
	v_fmac_f32_e32 v46, 0xbf737871, v49
	v_fmac_f32_e32 v50, 0x3f167918, v54
	v_add_f32_e32 v61, v61, v62
	v_fmac_f32_e32 v46, 0xbf167918, v54
	v_fmac_f32_e32 v50, 0x3e9e377a, v61
	;; [unrolled: 1-line block ×3, first 2 shown]
	v_add_f32_e32 v61, v26, v67
	v_add_f32_e32 v45, v2, v26
	v_fma_f32 v2, -0.5, v61, v2
	v_mov_b32_e32 v70, v2
	v_fmac_f32_e32 v70, 0xbf737871, v54
	v_fmac_f32_e32 v2, 0x3f737871, v54
	v_add_f32_e32 v54, v31, v60
	v_sub_f32_e32 v61, v30, v26
	v_sub_f32_e32 v62, v59, v67
	v_fma_f32 v54, -0.5, v54, v3
	v_add_f32_e32 v45, v45, v30
	v_fmac_f32_e32 v70, 0x3f167918, v49
	v_add_f32_e32 v61, v61, v62
	v_fmac_f32_e32 v2, 0xbf167918, v49
	v_sub_f32_e32 v26, v26, v67
	v_mov_b32_e32 v62, v54
	v_add_f32_e32 v45, v45, v59
	v_fmac_f32_e32 v70, 0x3e9e377a, v61
	v_fmac_f32_e32 v2, 0x3e9e377a, v61
	;; [unrolled: 1-line block ×3, first 2 shown]
	v_sub_f32_e32 v30, v30, v59
	v_sub_f32_e32 v59, v27, v31
	;; [unrolled: 1-line block ×3, first 2 shown]
	v_fmac_f32_e32 v54, 0x3f737871, v26
	v_fmac_f32_e32 v62, 0xbf167918, v30
	v_add_f32_e32 v59, v59, v61
	v_fmac_f32_e32 v54, 0x3f167918, v30
	v_fmac_f32_e32 v62, 0x3e9e377a, v59
	;; [unrolled: 1-line block ×3, first 2 shown]
	v_add_f32_e32 v59, v27, v68
	v_add_f32_e32 v49, v3, v27
	v_fma_f32 v3, -0.5, v59, v3
	v_add_f32_e32 v71, v71, v72
	v_add_f32_e32 v49, v49, v31
	v_mov_b32_e32 v72, v3
	v_sub_f32_e32 v27, v31, v27
	v_sub_f32_e32 v31, v60, v68
	v_fmac_f32_e32 v3, 0xbf737871, v30
	v_add_f32_e32 v27, v27, v31
	v_fmac_f32_e32 v3, 0x3f167918, v26
	v_fmac_f32_e32 v72, 0x3f737871, v30
	v_fmac_f32_e32 v3, 0x3e9e377a, v27
	v_mul_f32_e32 v30, 0xbe9e377a, v2
	v_fmac_f32_e32 v30, 0x3f737871, v3
	v_mul_f32_e32 v3, 0xbe9e377a, v3
	v_fmac_f32_e32 v72, 0xbf167918, v26
	v_fmac_f32_e32 v3, 0xbf737871, v2
	v_mul_f32_e32 v2, 0xbf4f1bbd, v54
	v_fmac_f32_e32 v72, 0x3e9e377a, v27
	v_mul_f32_e32 v83, 0xbf737871, v70
	;; [unrolled: 2-line block ×3, first 2 shown]
	v_fmac_f32_e32 v83, 0x3e9e377a, v72
	v_add_f32_e32 v72, v82, v2
	v_sub_f32_e32 v82, v82, v2
	v_add_f32_e32 v2, v43, v47
	v_mul_f32_e32 v26, 0x3f4f1bbd, v50
	v_add_f32_e32 v2, v2, v51
	v_fmac_f32_e32 v26, 0x3f167918, v62
	v_add_f32_e32 v2, v2, v55
	v_fmac_f32_e32 v76, 0x3e9e377a, v71
	;; [unrolled: 2-line block ×3, first 2 shown]
	v_sub_f32_e32 v75, v75, v26
	v_add_f32_e32 v26, v2, v63
	v_add_f32_e32 v2, v51, v55
	v_fmac_f32_e32 v41, 0x3e9e377a, v71
	v_add_f32_e32 v45, v45, v67
	v_add_f32_e32 v67, v76, v27
	v_mul_f32_e32 v31, 0xbf4f1bbd, v46
	v_mul_f32_e32 v50, 0xbf167918, v50
	v_sub_f32_e32 v77, v76, v27
	v_fma_f32 v27, -0.5, v2, v43
	v_add_f32_e32 v69, v41, v30
	v_fmac_f32_e32 v31, 0x3f167918, v54
	v_fmac_f32_e32 v50, 0x3f4f1bbd, v62
	v_sub_f32_e32 v79, v41, v30
	v_sub_f32_e32 v2, v48, v64
	v_mov_b32_e32 v30, v27
	v_add_f32_e32 v71, v74, v31
	v_add_f32_e32 v62, v80, v50
	;; [unrolled: 1-line block ×3, first 2 shown]
	v_sub_f32_e32 v81, v74, v31
	v_sub_f32_e32 v76, v80, v50
	;; [unrolled: 1-line block ×3, first 2 shown]
	v_fmac_f32_e32 v30, 0x3f737871, v2
	v_sub_f32_e32 v3, v52, v56
	v_sub_f32_e32 v31, v47, v51
	;; [unrolled: 1-line block ×3, first 2 shown]
	v_fmac_f32_e32 v27, 0xbf737871, v2
	v_fmac_f32_e32 v30, 0x3f167918, v3
	v_add_f32_e32 v31, v31, v41
	v_fmac_f32_e32 v27, 0xbf167918, v3
	v_fmac_f32_e32 v30, 0x3e9e377a, v31
	;; [unrolled: 1-line block ×3, first 2 shown]
	v_add_f32_e32 v31, v47, v63
	v_fma_f32 v31, -0.5, v31, v43
	v_mov_b32_e32 v41, v31
	v_fmac_f32_e32 v41, 0xbf737871, v3
	v_fmac_f32_e32 v31, 0x3f737871, v3
	;; [unrolled: 1-line block ×4, first 2 shown]
	v_add_f32_e32 v2, v44, v48
	v_sub_f32_e32 v42, v51, v47
	v_sub_f32_e32 v43, v55, v63
	v_add_f32_e32 v2, v2, v52
	v_add_f32_e32 v49, v49, v60
	;; [unrolled: 1-line block ×5, first 2 shown]
	v_fmac_f32_e32 v41, 0x3e9e377a, v42
	v_fmac_f32_e32 v31, 0x3e9e377a, v42
	v_add_f32_e32 v42, v2, v64
	v_add_f32_e32 v2, v52, v56
	;; [unrolled: 1-line block ×4, first 2 shown]
	v_sub_f32_e32 v74, v78, v49
	v_sub_f32_e32 v78, v53, v83
	v_fma_f32 v83, -0.5, v2, v44
	v_sub_f32_e32 v2, v47, v63
	v_mov_b32_e32 v54, v83
	v_add_f32_e32 v59, v73, v45
	v_sub_f32_e32 v73, v73, v45
	v_fmac_f32_e32 v54, 0xbf737871, v2
	v_sub_f32_e32 v3, v51, v55
	v_sub_f32_e32 v43, v48, v52
	;; [unrolled: 1-line block ×3, first 2 shown]
	v_fmac_f32_e32 v83, 0x3f737871, v2
	v_fmac_f32_e32 v54, 0xbf167918, v3
	v_add_f32_e32 v43, v43, v45
	v_fmac_f32_e32 v83, 0x3f167918, v3
	v_fmac_f32_e32 v54, 0x3e9e377a, v43
	;; [unrolled: 1-line block ×3, first 2 shown]
	v_add_f32_e32 v43, v48, v64
	v_fmac_f32_e32 v44, -0.5, v43
	v_mov_b32_e32 v63, v44
	v_fmac_f32_e32 v63, 0x3f737871, v3
	v_fmac_f32_e32 v44, 0xbf737871, v3
	;; [unrolled: 1-line block ×4, first 2 shown]
	s_waitcnt lgkmcnt(3)
	v_add_f32_e32 v2, v4, v8
	v_sub_f32_e32 v43, v52, v48
	v_sub_f32_e32 v45, v56, v64
	s_waitcnt lgkmcnt(2)
	v_add_f32_e32 v2, v2, v12
	v_add_f32_e32 v43, v43, v45
	s_waitcnt lgkmcnt(1)
	v_add_f32_e32 v2, v2, v16
	v_fmac_f32_e32 v63, 0x3e9e377a, v43
	v_fmac_f32_e32 v44, 0x3e9e377a, v43
	s_waitcnt lgkmcnt(0)
	v_add_f32_e32 v43, v2, v20
	v_add_f32_e32 v2, v12, v16
	v_fma_f32 v50, -0.5, v2, v4
	v_sub_f32_e32 v2, v9, v21
	v_mov_b32_e32 v46, v50
	v_fmac_f32_e32 v46, 0x3f737871, v2
	v_sub_f32_e32 v3, v13, v17
	v_sub_f32_e32 v45, v8, v12
	;; [unrolled: 1-line block ×3, first 2 shown]
	v_fmac_f32_e32 v50, 0xbf737871, v2
	v_fmac_f32_e32 v46, 0x3f167918, v3
	v_add_f32_e32 v45, v45, v47
	v_fmac_f32_e32 v50, 0xbf167918, v3
	v_fmac_f32_e32 v46, 0x3e9e377a, v45
	;; [unrolled: 1-line block ×3, first 2 shown]
	v_add_f32_e32 v45, v8, v20
	v_fma_f32 v48, -0.5, v45, v4
	v_mov_b32_e32 v51, v48
	v_fmac_f32_e32 v51, 0xbf737871, v3
	v_fmac_f32_e32 v48, 0x3f737871, v3
	;; [unrolled: 1-line block ×4, first 2 shown]
	v_add_f32_e32 v2, v5, v9
	v_add_f32_e32 v2, v2, v13
	;; [unrolled: 1-line block ×5, first 2 shown]
	v_sub_f32_e32 v4, v12, v8
	v_sub_f32_e32 v45, v16, v20
	v_fma_f32 v53, -0.5, v2, v5
	v_add_f32_e32 v4, v4, v45
	v_sub_f32_e32 v2, v8, v20
	v_mov_b32_e32 v8, v53
	v_fmac_f32_e32 v51, 0x3e9e377a, v4
	v_fmac_f32_e32 v48, 0x3e9e377a, v4
	;; [unrolled: 1-line block ×3, first 2 shown]
	v_sub_f32_e32 v3, v12, v16
	v_sub_f32_e32 v4, v9, v13
	;; [unrolled: 1-line block ×3, first 2 shown]
	v_fmac_f32_e32 v53, 0x3f737871, v2
	v_fmac_f32_e32 v8, 0xbf167918, v3
	v_add_f32_e32 v4, v4, v12
	v_fmac_f32_e32 v53, 0x3f167918, v3
	v_fmac_f32_e32 v8, 0x3e9e377a, v4
	;; [unrolled: 1-line block ×3, first 2 shown]
	v_add_f32_e32 v4, v9, v21
	v_fma_f32 v12, -0.5, v4, v5
	v_mov_b32_e32 v16, v12
	v_fmac_f32_e32 v16, 0x3f737871, v3
	v_sub_f32_e32 v4, v13, v9
	v_sub_f32_e32 v5, v17, v21
	v_fmac_f32_e32 v16, 0xbf167918, v2
	v_add_f32_e32 v4, v4, v5
	v_mul_f32_e32 v9, 0x3f4f1bbd, v46
	v_mul_f32_e32 v21, 0xbf167918, v46
	v_fmac_f32_e32 v16, 0x3e9e377a, v4
	v_fmac_f32_e32 v9, 0x3f167918, v8
	;; [unrolled: 1-line block ×3, first 2 shown]
	v_mul_f32_e32 v8, 0xbf737871, v51
	v_fmac_f32_e32 v8, 0x3e9e377a, v16
	v_add_f32_e32 v46, v63, v8
	v_sub_f32_e32 v56, v63, v8
	v_add_f32_e32 v8, v0, v24
	v_fmac_f32_e32 v12, 0xbf737871, v3
	v_mul_f32_e32 v20, 0xbf4f1bbd, v50
	v_add_f32_e32 v8, v8, v28
	v_fmac_f32_e32 v12, 0x3f167918, v2
	v_mul_f32_e32 v13, 0x3f737871, v16
	v_fmac_f32_e32 v20, 0x3f167918, v53
	v_add_f32_e32 v8, v8, v57
	v_fmac_f32_e32 v12, 0x3e9e377a, v4
	v_add_f32_e32 v2, v26, v43
	v_fmac_f32_e32 v13, 0x3e9e377a, v51
	v_mul_f32_e32 v17, 0xbe9e377a, v48
	v_add_f32_e32 v49, v27, v20
	v_sub_f32_e32 v51, v26, v43
	v_sub_f32_e32 v43, v27, v20
	v_add_f32_e32 v20, v8, v65
	v_add_f32_e32 v8, v28, v57
	v_fmac_f32_e32 v17, 0x3f737871, v12
	v_add_f32_e32 v5, v54, v21
	v_mul_f32_e32 v12, 0xbe9e377a, v12
	v_sub_f32_e32 v54, v54, v21
	v_fma_f32 v21, -0.5, v8, v0
	v_fmac_f32_e32 v12, 0xbf737871, v48
	v_sub_f32_e32 v8, v25, v66
	v_mov_b32_e32 v26, v21
	v_add_f32_e32 v4, v30, v9
	v_add_f32_e32 v45, v41, v13
	;; [unrolled: 1-line block ×4, first 2 shown]
	v_mul_f32_e32 v16, 0xbf4f1bbd, v53
	v_sub_f32_e32 v53, v30, v9
	v_sub_f32_e32 v55, v41, v13
	;; [unrolled: 1-line block ×4, first 2 shown]
	v_fmac_f32_e32 v26, 0x3f737871, v8
	v_sub_f32_e32 v9, v29, v58
	v_sub_f32_e32 v12, v24, v28
	;; [unrolled: 1-line block ×3, first 2 shown]
	v_fmac_f32_e32 v21, 0xbf737871, v8
	v_fmac_f32_e32 v26, 0x3f167918, v9
	v_add_f32_e32 v12, v12, v13
	v_fmac_f32_e32 v21, 0xbf167918, v9
	v_fmac_f32_e32 v26, 0x3e9e377a, v12
	;; [unrolled: 1-line block ×3, first 2 shown]
	v_add_f32_e32 v12, v24, v65
	v_fma_f32 v0, -0.5, v12, v0
	v_mov_b32_e32 v27, v0
	v_fmac_f32_e32 v27, 0xbf737871, v9
	v_fmac_f32_e32 v0, 0x3f737871, v9
	;; [unrolled: 1-line block ×4, first 2 shown]
	v_add_f32_e32 v8, v1, v25
	v_add_f32_e32 v8, v8, v29
	;; [unrolled: 1-line block ×6, first 2 shown]
	v_sub_f32_e32 v41, v31, v17
	v_sub_f32_e32 v12, v28, v24
	;; [unrolled: 1-line block ×3, first 2 shown]
	v_fma_f32 v31, -0.5, v8, v1
	v_add_f32_e32 v12, v12, v13
	v_sub_f32_e32 v8, v24, v65
	v_mov_b32_e32 v63, v31
	v_fmac_f32_e32 v27, 0x3e9e377a, v12
	v_fmac_f32_e32 v0, 0x3e9e377a, v12
	;; [unrolled: 1-line block ×3, first 2 shown]
	v_sub_f32_e32 v9, v28, v57
	v_sub_f32_e32 v12, v25, v29
	;; [unrolled: 1-line block ×3, first 2 shown]
	v_fmac_f32_e32 v31, 0x3f737871, v8
	v_fmac_f32_e32 v63, 0xbf167918, v9
	v_add_f32_e32 v12, v12, v13
	v_fmac_f32_e32 v31, 0x3f167918, v9
	v_fmac_f32_e32 v63, 0x3e9e377a, v12
	;; [unrolled: 1-line block ×3, first 2 shown]
	v_add_f32_e32 v12, v25, v66
	v_fmac_f32_e32 v1, -0.5, v12
	v_mov_b32_e32 v28, v1
	v_fmac_f32_e32 v28, 0x3f737871, v9
	v_fmac_f32_e32 v1, 0xbf737871, v9
	;; [unrolled: 1-line block ×4, first 2 shown]
	v_add_f32_e32 v8, v6, v10
	v_add_f32_e32 v8, v8, v14
	;; [unrolled: 1-line block ×5, first 2 shown]
	v_sub_f32_e32 v12, v29, v25
	v_sub_f32_e32 v13, v58, v66
	v_fma_f32 v17, -0.5, v8, v6
	v_fmac_f32_e32 v16, 0xbf167918, v50
	v_add_f32_e32 v12, v12, v13
	v_sub_f32_e32 v8, v11, v23
	v_mov_b32_e32 v13, v17
	v_add_f32_e32 v50, v83, v16
	v_sub_f32_e32 v44, v83, v16
	v_fmac_f32_e32 v28, 0x3e9e377a, v12
	v_fmac_f32_e32 v1, 0x3e9e377a, v12
	;; [unrolled: 1-line block ×3, first 2 shown]
	v_sub_f32_e32 v9, v15, v19
	v_sub_f32_e32 v12, v10, v14
	;; [unrolled: 1-line block ×3, first 2 shown]
	v_fmac_f32_e32 v17, 0xbf737871, v8
	v_fmac_f32_e32 v13, 0x3f167918, v9
	v_add_f32_e32 v12, v12, v16
	v_fmac_f32_e32 v17, 0xbf167918, v9
	v_fmac_f32_e32 v13, 0x3e9e377a, v12
	;; [unrolled: 1-line block ×3, first 2 shown]
	v_add_f32_e32 v12, v10, v22
	v_fma_f32 v6, -0.5, v12, v6
	v_mov_b32_e32 v25, v6
	v_fmac_f32_e32 v25, 0xbf737871, v9
	v_fmac_f32_e32 v6, 0x3f737871, v9
	;; [unrolled: 1-line block ×4, first 2 shown]
	v_add_f32_e32 v8, v7, v11
	v_add_f32_e32 v8, v8, v15
	;; [unrolled: 1-line block ×5, first 2 shown]
	v_sub_f32_e32 v12, v14, v10
	v_sub_f32_e32 v16, v18, v22
	v_fma_f32 v57, -0.5, v8, v7
	v_add_f32_e32 v12, v12, v16
	v_sub_f32_e32 v8, v10, v22
	v_mov_b32_e32 v22, v57
	v_fmac_f32_e32 v25, 0x3e9e377a, v12
	v_fmac_f32_e32 v6, 0x3e9e377a, v12
	;; [unrolled: 1-line block ×3, first 2 shown]
	v_sub_f32_e32 v9, v14, v18
	v_sub_f32_e32 v10, v11, v15
	;; [unrolled: 1-line block ×3, first 2 shown]
	v_fmac_f32_e32 v57, 0x3f737871, v8
	v_fmac_f32_e32 v22, 0xbf167918, v9
	v_add_f32_e32 v10, v10, v12
	v_fmac_f32_e32 v57, 0x3f167918, v9
	v_fmac_f32_e32 v22, 0x3e9e377a, v10
	;; [unrolled: 1-line block ×3, first 2 shown]
	v_add_f32_e32 v10, v11, v23
	v_fmac_f32_e32 v7, -0.5, v10
	v_mov_b32_e32 v18, v7
	v_fmac_f32_e32 v18, 0x3f737871, v9
	v_sub_f32_e32 v10, v15, v11
	v_sub_f32_e32 v11, v19, v23
	v_fmac_f32_e32 v18, 0xbf167918, v8
	v_add_f32_e32 v10, v10, v11
	v_fmac_f32_e32 v18, 0x3e9e377a, v10
	v_fmac_f32_e32 v7, 0xbf737871, v9
	;; [unrolled: 1-line block ×3, first 2 shown]
	v_mul_f32_e32 v23, 0x3f737871, v18
	v_fmac_f32_e32 v7, 0x3e9e377a, v10
	v_fmac_f32_e32 v23, 0x3e9e377a, v25
	v_mul_f32_e32 v58, 0xbe9e377a, v6
	v_mul_f32_e32 v25, 0xbf737871, v25
	;; [unrolled: 1-line block ×3, first 2 shown]
	v_fmac_f32_e32 v58, 0x3f737871, v7
	v_mul_f32_e32 v65, 0xbf167918, v13
	v_fmac_f32_e32 v25, 0x3e9e377a, v18
	v_add_f32_e32 v8, v20, v24
	v_fmac_f32_e32 v19, 0x3f167918, v22
	v_add_f32_e32 v12, v27, v23
	v_add_f32_e32 v14, v0, v58
	v_fmac_f32_e32 v65, 0x3f4f1bbd, v22
	v_add_f32_e32 v13, v28, v25
	v_sub_f32_e32 v18, v20, v24
	v_sub_f32_e32 v22, v27, v23
	;; [unrolled: 1-line block ×4, first 2 shown]
	v_mul_lo_u16_e32 v0, 10, v227
	v_mul_lo_u16_sdwa v28, v227, s3 dst_sel:DWORD dst_unused:UNUSED_PAD src0_sel:BYTE_0 src1_sel:DWORD
	v_lshlrev_b32_e32 v0, 3, v0
	v_lshrrev_b16_e32 v28, 11, v28
	v_add_f32_e32 v10, v26, v19
	v_add_f32_e32 v9, v30, v29
	v_mul_f32_e32 v7, 0xbe9e377a, v7
	v_sub_f32_e32 v20, v26, v19
	v_sub_f32_e32 v19, v30, v29
	s_barrier
	buffer_store_dword v0, off, s[24:27], 0 offset:224 ; 4-byte Folded Spill
	ds_write_b128 v0, v[59:62]
	ds_write_b128 v0, v[67:70] offset:16
	ds_write_b128 v0, v[71:74] offset:32
	;; [unrolled: 1-line block ×4, first 2 shown]
	v_mul_u32_u24_e32 v0, 10, v32
	v_mul_lo_u16_e32 v29, 10, v28
	v_mul_f32_e32 v64, 0xbf4f1bbd, v17
	v_fmac_f32_e32 v7, 0xbf737871, v6
	v_mul_f32_e32 v6, 0xbf4f1bbd, v57
	v_lshlrev_b32_e32 v0, 3, v0
	v_sub_u16_e32 v29, v227, v29
	v_fmac_f32_e32 v64, 0x3f167918, v57
	v_fmac_f32_e32 v6, 0xbf167918, v17
	buffer_store_dword v0, off, s[24:27], 0 offset:220 ; 4-byte Folded Spill
	ds_write_b128 v0, v[2:5]
	ds_write_b128 v0, v[45:48] offset:16
	ds_write_b128 v0, v[49:52] offset:32
	ds_write_b128 v0, v[53:56] offset:48
	ds_write_b128 v0, v[41:44] offset:64
	v_mul_u32_u24_e32 v0, 10, v33
	v_and_b32_e32 v29, 0xff, v29
	v_add_f32_e32 v16, v21, v64
	v_add_f32_e32 v11, v63, v65
	;; [unrolled: 1-line block ×4, first 2 shown]
	v_sub_f32_e32 v26, v21, v64
	v_sub_f32_e32 v21, v63, v65
	;; [unrolled: 1-line block ×4, first 2 shown]
	v_lshlrev_b32_e32 v0, 3, v0
	v_lshlrev_b32_e32 v30, 4, v29
	buffer_store_dword v0, off, s[24:27], 0 offset:216 ; 4-byte Folded Spill
	ds_write_b128 v0, v[8:11]
	ds_write_b128 v0, v[12:15] offset:16
	ds_write_b128 v0, v[16:19] offset:32
	;; [unrolled: 1-line block ×4, first 2 shown]
	s_waitcnt vmcnt(0) lgkmcnt(0)
	s_barrier
	ds_read2_b64 v[16:19], v249 offset1:100
	ds_read2_b64 v[41:44], v232 offset0:104 offset1:204
	ds_read2_b64 v[54:57], v87 offset0:80 offset1:180
	;; [unrolled: 1-line block ×8, first 2 shown]
	v_mov_b32_e32 v131, v85
	ds_read2_b64 v[4:7], v90 offset0:88 offset1:188
	ds_read2_b64 v[78:81], v94 offset0:64 offset1:164
	ds_read2_b64 v[82:85], v86 offset0:40 offset1:140
	ds_read2_b64 v[0:3], v89 offset0:32 offset1:132
	ds_read2_b64 v[24:27], v247 offset0:8 offset1:108
	ds_read2_b64 v[20:23], v92 offset0:112 offset1:212
	global_load_dwordx4 v[48:51], v30, s[10:11]
	v_mov_b32_e32 v134, v89
	v_mov_b32_e32 v133, v88
	;; [unrolled: 1-line block ×7, first 2 shown]
	v_mul_u32_u24_e32 v28, 30, v28
	v_add_lshl_u32 v28, v28, v29, 3
	v_mov_b32_e32 v194, v137
	v_mov_b32_e32 v187, v134
	v_mov_b32_e32 v185, v135
	v_mov_b32_e32 v186, v136
	v_mov_b32_e32 v190, v132
	v_mov_b32_e32 v188, v130
	v_mov_b32_e32 v191, v133
	v_mov_b32_e32 v189, v131
	s_waitcnt vmcnt(0) lgkmcnt(13)
	v_mul_f32_e32 v30, v42, v49
	v_fma_f32 v47, v41, v48, -v30
	s_waitcnt lgkmcnt(12)
	v_mul_f32_e32 v30, v55, v51
	v_fma_f32 v89, v54, v50, -v30
	v_mul_lo_u16_sdwa v30, v32, s3 dst_sel:DWORD dst_unused:UNUSED_PAD src0_sel:BYTE_0 src1_sel:DWORD
	v_lshrrev_b16_e32 v30, 11, v30
	v_mul_lo_u16_e32 v31, 10, v30
	v_sub_u16_e32 v31, v32, v31
	v_and_b32_e32 v31, 0xff, v31
	v_mul_f32_e32 v88, v41, v49
	v_mul_f32_e32 v90, v54, v51
	v_lshlrev_b32_e32 v41, 4, v31
	v_fmac_f32_e32 v90, v55, v50
	global_load_dwordx4 v[52:55], v41, s[10:11]
	s_mov_b32 s3, 0xcccd
	v_fmac_f32_e32 v88, v42, v48
	s_waitcnt vmcnt(0)
	v_mul_f32_e32 v41, v44, v53
	v_fma_f32 v91, v43, v52, -v41
	v_mul_f32_e32 v41, v57, v55
	v_fma_f32 v93, v56, v54, -v41
	v_mul_u32_u24_sdwa v41, v33, s3 dst_sel:DWORD dst_unused:UNUSED_PAD src0_sel:WORD_0 src1_sel:DWORD
	v_lshrrev_b32_e32 v41, 19, v41
	v_mul_lo_u16_e32 v42, 10, v41
	v_sub_u16_e32 v42, v33, v42
	v_mul_f32_e32 v92, v43, v53
	v_lshlrev_b16_e32 v43, 1, v42
	v_mul_f32_e32 v94, v56, v55
	v_lshlrev_b32_e32 v43, 3, v43
	v_fmac_f32_e32 v94, v57, v54
	global_load_dwordx4 v[56:59], v43, s[10:11]
	v_fmac_f32_e32 v92, v44, v52
	s_waitcnt vmcnt(0) lgkmcnt(10)
	v_mul_f32_e32 v43, v63, v57
	v_fma_f32 v95, v62, v56, -v43
	s_waitcnt lgkmcnt(9)
	v_mul_f32_e32 v43, v67, v59
	v_fma_f32 v97, v66, v58, -v43
	v_mul_u32_u24_sdwa v43, v36, s3 dst_sel:DWORD dst_unused:UNUSED_PAD src0_sel:WORD_0 src1_sel:DWORD
	v_lshrrev_b32_e32 v43, 19, v43
	v_mul_lo_u16_e32 v44, 10, v43
	v_sub_u16_e32 v36, v36, v44
	v_lshlrev_b16_e32 v44, 1, v36
	v_mul_f32_e32 v96, v62, v57
	v_lshlrev_b32_e32 v44, 3, v44
	v_fmac_f32_e32 v96, v63, v56
	global_load_dwordx4 v[60:63], v44, s[10:11]
	v_mul_f32_e32 v98, v66, v59
	v_fmac_f32_e32 v98, v67, v58
	s_waitcnt vmcnt(0)
	v_mul_f32_e32 v44, v65, v61
	v_fma_f32 v99, v64, v60, -v44
	v_mul_f32_e32 v44, v69, v63
	v_fma_f32 v101, v68, v62, -v44
	v_mul_u32_u24_sdwa v44, v38, s3 dst_sel:DWORD dst_unused:UNUSED_PAD src0_sel:WORD_0 src1_sel:DWORD
	v_lshrrev_b32_e32 v44, 19, v44
	v_mul_lo_u16_e32 v45, 10, v44
	v_sub_u16_e32 v38, v38, v45
	v_lshlrev_b16_e32 v45, 1, v38
	v_mul_f32_e32 v100, v64, v61
	v_lshlrev_b32_e32 v45, 3, v45
	v_fmac_f32_e32 v100, v65, v60
	global_load_dwordx4 v[64:67], v45, s[10:11]
	v_mul_f32_e32 v102, v68, v63
	v_fmac_f32_e32 v102, v69, v62
	s_waitcnt vmcnt(0) lgkmcnt(7)
	v_mul_f32_e32 v45, v71, v65
	v_fma_f32 v103, v70, v64, -v45
	s_waitcnt lgkmcnt(6)
	v_mul_f32_e32 v45, v75, v67
	v_fma_f32 v105, v74, v66, -v45
	v_mul_u32_u24_sdwa v45, v40, s3 dst_sel:DWORD dst_unused:UNUSED_PAD src0_sel:WORD_0 src1_sel:DWORD
	v_lshrrev_b32_e32 v45, 19, v45
	v_mul_lo_u16_e32 v46, 10, v45
	v_sub_u16_e32 v40, v40, v46
	v_lshlrev_b16_e32 v46, 1, v40
	v_mul_f32_e32 v104, v70, v65
	v_lshlrev_b32_e32 v46, 3, v46
	v_fmac_f32_e32 v104, v71, v64
	global_load_dwordx4 v[68:71], v46, s[10:11]
	v_mul_f32_e32 v106, v74, v67
	v_fmac_f32_e32 v106, v75, v66
	s_waitcnt vmcnt(0)
	v_mul_f32_e32 v46, v73, v69
	v_fma_f32 v107, v72, v68, -v46
	v_mul_f32_e32 v46, v77, v71
	v_fma_f32 v109, v76, v70, -v46
	v_mul_u32_u24_sdwa v46, v35, s3 dst_sel:DWORD dst_unused:UNUSED_PAD src0_sel:WORD_0 src1_sel:DWORD
	v_lshrrev_b32_e32 v46, 19, v46
	v_mul_f32_e32 v108, v72, v69
	v_mul_lo_u16_e32 v72, 10, v46
	v_sub_u16_e32 v35, v35, v72
	v_lshlrev_b16_e32 v72, 1, v35
	v_lshlrev_b32_e32 v72, 3, v72
	v_fmac_f32_e32 v108, v73, v68
	global_load_dwordx4 v[72:75], v72, s[10:11]
	v_mul_f32_e32 v110, v76, v71
	v_fmac_f32_e32 v110, v77, v70
	s_waitcnt vmcnt(0) lgkmcnt(4)
	v_mul_f32_e32 v76, v79, v73
	v_fma_f32 v111, v78, v72, -v76
	s_waitcnt lgkmcnt(3)
	v_mul_f32_e32 v76, v83, v75
	v_fma_f32 v113, v82, v74, -v76
	v_mul_u32_u24_sdwa v76, v37, s3 dst_sel:DWORD dst_unused:UNUSED_PAD src0_sel:WORD_0 src1_sel:DWORD
	v_lshrrev_b32_e32 v120, 19, v76
	v_mul_lo_u16_e32 v76, 10, v120
	v_sub_u16_e32 v37, v37, v76
	v_lshlrev_b16_e32 v76, 1, v37
	v_mul_f32_e32 v112, v78, v73
	v_lshlrev_b32_e32 v76, 3, v76
	v_fmac_f32_e32 v112, v79, v72
	global_load_dwordx4 v[76:79], v76, s[10:11]
	v_mul_f32_e32 v114, v82, v75
	v_fmac_f32_e32 v114, v83, v74
	s_waitcnt vmcnt(0)
	v_mul_f32_e32 v82, v81, v77
	v_fma_f32 v115, v80, v76, -v82
	v_mul_f32_e32 v116, v80, v77
	v_mul_f32_e32 v80, v85, v79
	v_fma_f32 v117, v84, v78, -v80
	v_mul_u32_u24_sdwa v80, v39, s3 dst_sel:DWORD dst_unused:UNUSED_PAD src0_sel:WORD_0 src1_sel:DWORD
	v_lshrrev_b32_e32 v121, 19, v80
	v_mul_lo_u16_e32 v80, 10, v121
	v_sub_u16_e32 v39, v39, v80
	v_lshlrev_b16_e32 v80, 1, v39
	v_lshlrev_b32_e32 v80, 3, v80
	v_fmac_f32_e32 v116, v81, v76
	global_load_dwordx4 v[80:83], v80, s[10:11]
	v_mul_f32_e32 v118, v84, v79
	v_fmac_f32_e32 v118, v85, v78
	s_waitcnt vmcnt(0) lgkmcnt(1)
	v_mul_f32_e32 v84, v25, v81
	v_fma_f32 v119, v24, v80, -v84
	v_mul_f32_e32 v122, v24, v81
	s_waitcnt lgkmcnt(0)
	v_mul_f32_e32 v24, v21, v83
	v_fma_f32 v123, v20, v82, -v24
	v_mul_f32_e32 v124, v20, v83
	v_mul_u32_u24_sdwa v20, v34, s3 dst_sel:DWORD dst_unused:UNUSED_PAD src0_sel:WORD_0 src1_sel:DWORD
	v_lshrrev_b32_e32 v125, 19, v20
	v_mul_lo_u16_e32 v20, 10, v125
	v_sub_u16_e32 v34, v34, v20
	v_lshlrev_b16_e32 v20, 1, v34
	v_lshlrev_b32_e32 v20, 3, v20
	global_load_dwordx4 v[84:87], v20, s[10:11]
	v_fmac_f32_e32 v124, v21, v82
	v_add_f32_e32 v21, v47, v89
	v_fmac_f32_e32 v122, v25, v80
	v_sub_f32_e32 v24, v47, v89
	v_add_f32_e32 v25, v91, v93
	s_waitcnt vmcnt(0)
	s_barrier
	buffer_store_dword v28, off, s[24:27], 0 offset:212 ; 4-byte Folded Spill
	s_movk_i32 s3, 0x48
	v_mul_f32_e32 v20, v27, v85
	v_fma_f32 v126, v26, v84, -v20
	v_mul_f32_e32 v20, v23, v87
	v_fma_f32 v128, v22, v86, -v20
	v_mul_f32_e32 v129, v22, v87
	v_add_f32_e32 v20, v16, v47
	v_fma_f32 v16, -0.5, v21, v16
	v_fmac_f32_e32 v129, v23, v86
	v_sub_f32_e32 v21, v88, v90
	v_mov_b32_e32 v22, v16
	v_add_f32_e32 v23, v88, v90
	v_fmac_f32_e32 v22, 0x3f5db3d7, v21
	v_fmac_f32_e32 v16, 0xbf5db3d7, v21
	v_add_f32_e32 v21, v17, v88
	v_fma_f32 v17, -0.5, v23, v17
	v_mov_b32_e32 v23, v17
	v_mul_f32_e32 v127, v26, v85
	v_fmac_f32_e32 v23, 0xbf5db3d7, v24
	v_fmac_f32_e32 v17, 0x3f5db3d7, v24
	v_add_f32_e32 v24, v18, v91
	v_fma_f32 v18, -0.5, v25, v18
	v_fmac_f32_e32 v127, v27, v84
	v_sub_f32_e32 v25, v92, v94
	v_mov_b32_e32 v26, v18
	v_add_f32_e32 v27, v92, v94
	v_fmac_f32_e32 v26, 0x3f5db3d7, v25
	v_fmac_f32_e32 v18, 0xbf5db3d7, v25
	v_add_f32_e32 v25, v19, v92
	v_fmac_f32_e32 v19, -0.5, v27
	v_sub_f32_e32 v47, v91, v93
	v_mov_b32_e32 v27, v19
	v_fmac_f32_e32 v27, 0xbf5db3d7, v47
	v_fmac_f32_e32 v19, 0x3f5db3d7, v47
	v_add_f32_e32 v47, v12, v95
	v_add_f32_e32 v88, v47, v97
	v_add_f32_e32 v47, v95, v97
	v_fma_f32 v12, -0.5, v47, v12
	v_add_f32_e32 v21, v21, v90
	v_sub_f32_e32 v47, v96, v98
	v_mov_b32_e32 v90, v12
	v_fmac_f32_e32 v90, 0x3f5db3d7, v47
	v_fmac_f32_e32 v12, 0xbf5db3d7, v47
	v_add_f32_e32 v47, v13, v96
	v_add_f32_e32 v20, v20, v89
	;; [unrolled: 1-line block ×4, first 2 shown]
	v_fma_f32 v13, -0.5, v47, v13
	v_sub_f32_e32 v47, v95, v97
	v_mov_b32_e32 v91, v13
	v_fmac_f32_e32 v91, 0xbf5db3d7, v47
	v_fmac_f32_e32 v13, 0x3f5db3d7, v47
	v_add_f32_e32 v47, v14, v99
	v_add_f32_e32 v92, v47, v101
	;; [unrolled: 1-line block ×3, first 2 shown]
	v_fma_f32 v14, -0.5, v47, v14
	v_add_f32_e32 v25, v25, v94
	v_sub_f32_e32 v47, v100, v102
	v_mov_b32_e32 v94, v14
	v_fmac_f32_e32 v94, 0x3f5db3d7, v47
	v_fmac_f32_e32 v14, 0xbf5db3d7, v47
	v_add_f32_e32 v47, v15, v100
	v_add_f32_e32 v24, v24, v93
	;; [unrolled: 1-line block ×4, first 2 shown]
	v_fmac_f32_e32 v15, -0.5, v47
	v_sub_f32_e32 v47, v99, v101
	v_mov_b32_e32 v95, v15
	v_fmac_f32_e32 v95, 0xbf5db3d7, v47
	v_fmac_f32_e32 v15, 0x3f5db3d7, v47
	v_add_f32_e32 v47, v8, v103
	v_add_f32_e32 v96, v47, v105
	v_add_f32_e32 v47, v103, v105
	v_fma_f32 v8, -0.5, v47, v8
	v_sub_f32_e32 v47, v104, v106
	v_mov_b32_e32 v98, v8
	v_fmac_f32_e32 v98, 0x3f5db3d7, v47
	v_fmac_f32_e32 v8, 0xbf5db3d7, v47
	v_add_f32_e32 v47, v9, v104
	v_add_f32_e32 v97, v47, v106
	v_add_f32_e32 v47, v104, v106
	v_fma_f32 v9, -0.5, v47, v9
	;; [unrolled: 8-line block ×3, first 2 shown]
	v_sub_f32_e32 v47, v108, v110
	v_mov_b32_e32 v102, v10
	v_fmac_f32_e32 v102, 0x3f5db3d7, v47
	v_fmac_f32_e32 v10, 0xbf5db3d7, v47
	v_add_f32_e32 v47, v11, v108
	v_add_f32_e32 v101, v47, v110
	;; [unrolled: 1-line block ×3, first 2 shown]
	v_fmac_f32_e32 v11, -0.5, v47
	v_sub_f32_e32 v47, v107, v109
	v_mov_b32_e32 v103, v11
	v_fmac_f32_e32 v103, 0xbf5db3d7, v47
	v_fmac_f32_e32 v11, 0x3f5db3d7, v47
	v_add_f32_e32 v47, v4, v111
	v_add_f32_e32 v104, v47, v113
	v_add_f32_e32 v47, v111, v113
	v_fma_f32 v4, -0.5, v47, v4
	v_sub_f32_e32 v47, v112, v114
	v_mov_b32_e32 v106, v4
	v_fmac_f32_e32 v106, 0x3f5db3d7, v47
	v_fmac_f32_e32 v4, 0xbf5db3d7, v47
	v_add_f32_e32 v47, v5, v112
	v_add_f32_e32 v105, v47, v114
	v_add_f32_e32 v47, v112, v114
	v_fma_f32 v5, -0.5, v47, v5
	;; [unrolled: 8-line block ×3, first 2 shown]
	v_sub_f32_e32 v47, v116, v118
	v_mov_b32_e32 v110, v6
	v_fmac_f32_e32 v110, 0x3f5db3d7, v47
	v_fmac_f32_e32 v6, 0xbf5db3d7, v47
	v_add_f32_e32 v47, v7, v116
	v_add_f32_e32 v109, v47, v118
	;; [unrolled: 1-line block ×3, first 2 shown]
	v_fmac_f32_e32 v7, -0.5, v47
	v_sub_f32_e32 v47, v115, v117
	v_mov_b32_e32 v111, v7
	ds_write2_b64 v28, v[20:21], v[22:23] offset1:10
	ds_write_b64 v28, v[16:17] offset:160
	v_mul_u32_u24_e32 v16, 30, v30
	v_fmac_f32_e32 v111, 0xbf5db3d7, v47
	v_fmac_f32_e32 v7, 0x3f5db3d7, v47
	v_add_f32_e32 v47, v0, v119
	v_add_lshl_u32 v16, v16, v31, 3
	v_add_f32_e32 v112, v47, v123
	v_add_f32_e32 v47, v119, v123
	buffer_store_dword v16, off, s[24:27], 0 offset:208 ; 4-byte Folded Spill
	ds_write2_b64 v16, v[24:25], v[26:27] offset1:10
	ds_write_b64 v16, v[18:19] offset:160
	v_mad_legacy_u16 v16, v41, 30, v42
	v_fma_f32 v0, -0.5, v47, v0
	v_lshlrev_b32_e32 v16, 3, v16
	v_sub_f32_e32 v47, v122, v124
	v_mov_b32_e32 v114, v0
	buffer_store_dword v16, off, s[24:27], 0 offset:204 ; 4-byte Folded Spill
	ds_write2_b64 v16, v[88:89], v[90:91] offset1:10
	ds_write_b64 v16, v[12:13] offset:160
	v_mad_legacy_u16 v12, v43, 30, v36
	v_fmac_f32_e32 v114, 0x3f5db3d7, v47
	v_fmac_f32_e32 v0, 0xbf5db3d7, v47
	v_add_f32_e32 v47, v1, v122
	v_lshlrev_b32_e32 v12, 3, v12
	v_add_f32_e32 v113, v47, v124
	v_add_f32_e32 v47, v122, v124
	buffer_store_dword v12, off, s[24:27], 0 offset:200 ; 4-byte Folded Spill
	ds_write2_b64 v12, v[92:93], v[94:95] offset1:10
	ds_write_b64 v12, v[14:15] offset:160
	v_mad_legacy_u16 v12, v44, 30, v38
	v_fma_f32 v1, -0.5, v47, v1
	v_lshlrev_b32_e32 v12, 3, v12
	v_sub_f32_e32 v47, v119, v123
	v_mov_b32_e32 v115, v1
	buffer_store_dword v12, off, s[24:27], 0 offset:176 ; 4-byte Folded Spill
	ds_write2_b64 v12, v[96:97], v[98:99] offset1:10
	ds_write_b64 v12, v[8:9] offset:160
	v_mad_legacy_u16 v8, v45, 30, v40
	v_fmac_f32_e32 v115, 0xbf5db3d7, v47
	v_fmac_f32_e32 v1, 0x3f5db3d7, v47
	v_add_f32_e32 v47, v2, v126
	v_lshlrev_b32_e32 v8, 3, v8
	;; [unrolled: 18-line block ×3, first 2 shown]
	v_add_f32_e32 v117, v47, v129
	v_add_f32_e32 v47, v127, v129
	buffer_store_dword v4, off, s[24:27], 0 offset:188 ; 4-byte Folded Spill
	ds_write2_b64 v4, v[108:109], v[110:111] offset1:10
	ds_write_b64 v4, v[6:7] offset:160
	v_mad_legacy_u16 v4, v121, 30, v39
	v_fmac_f32_e32 v3, -0.5, v47
	v_lshlrev_b32_e32 v4, 3, v4
	v_sub_f32_e32 v47, v126, v128
	v_mov_b32_e32 v119, v3
	buffer_store_dword v4, off, s[24:27], 0 offset:192 ; 4-byte Folded Spill
	ds_write2_b64 v4, v[112:113], v[114:115] offset1:10
	ds_write_b64 v4, v[0:1] offset:160
	v_mad_legacy_u16 v0, v125, 30, v34
	v_fmac_f32_e32 v119, 0xbf5db3d7, v47
	v_lshlrev_b32_e32 v0, 3, v0
	v_fmac_f32_e32 v3, 0x3f5db3d7, v47
	buffer_store_dword v0, off, s[24:27], 0 offset:196 ; 4-byte Folded Spill
	ds_write2_b64 v0, v[116:117], v[118:119] offset1:10
	ds_write_b64 v0, v[2:3] offset:160
	v_mul_lo_u16_sdwa v0, v227, s6 dst_sel:DWORD dst_unused:UNUSED_PAD src0_sel:BYTE_0 src1_sel:DWORD
	v_lshrrev_b16_e32 v156, 12, v0
	v_mul_lo_u16_e32 v0, 30, v156
	v_sub_u16_e32 v0, v227, v0
	v_mov_b32_e32 v101, s11
	v_and_b32_e32 v157, 0xff, v0
	v_mov_b32_e32 v100, s10
	v_mad_u64_u32 v[0:1], s[4:5], v157, s3, v[100:101]
	s_waitcnt vmcnt(0) lgkmcnt(0)
	s_barrier
	ds_read2_b64 v[92:95], v249 offset1:100
	ds_read2_b64 v[88:91], v136 offset0:72 offset1:172
	ds_read2_b64 v[34:37], v135 offset0:88 offset1:188
	;; [unrolled: 1-line block ×14, first 2 shown]
	global_load_dwordx4 v[217:220], v[0:1], off offset:208
	global_load_dwordx4 v[4:7], v[0:1], off offset:192
	;; [unrolled: 1-line block ×4, first 2 shown]
	global_load_dwordx2 v[230:231], v[0:1], off offset:224
	v_mov_b32_e32 v232, v200
	s_waitcnt vmcnt(4) lgkmcnt(6)
	v_mul_f32_e32 v141, v121, v220
	s_waitcnt vmcnt(3)
	v_mul_f32_e32 v140, v42, v7
	s_waitcnt vmcnt(2)
	;; [unrolled: 2-line block ×3, first 2 shown]
	v_mul_f32_e32 v2, v91, v17
	s_waitcnt vmcnt(0) lgkmcnt(5)
	v_mul_f32_e32 v0, v168, v231
	v_fma_f32 v137, v167, v230, -v0
	v_mul_lo_u16_sdwa v0, v32, s6 dst_sel:DWORD dst_unused:UNUSED_PAD src0_sel:BYTE_0 src1_sel:DWORD
	v_lshrrev_b16_e32 v150, 12, v0
	v_mul_lo_u16_e32 v0, 30, v150
	v_sub_u16_e32 v0, v32, v0
	v_and_b32_e32 v151, 0xff, v0
	v_mad_u64_u32 v[0:1], s[4:5], v151, s3, v[100:101]
	global_load_dwordx4 v[12:15], v[0:1], off offset:208
	global_load_dwordx4 v[20:23], v[0:1], off offset:192
	;; [unrolled: 1-line block ×4, first 2 shown]
	global_load_dwordx2 v[225:226], v[0:1], off offset:224
	v_fma_f32 v102, v90, v16, -v2
	v_mul_f32_e32 v2, v35, v19
	v_fma_f32 v142, v34, v18, -v2
	v_mul_f32_e32 v2, v119, v9
	v_fma_f32 v134, v118, v8, -v2
	v_mul_f32_e32 v2, v39, v11
	v_fma_f32 v143, v38, v10, -v2
	v_mul_f32_e32 v2, v149, v5
	v_fma_f32 v135, v148, v4, -v2
	v_mul_f32_e32 v2, v43, v7
	v_fma_f32 v144, v42, v6, -v2
	v_mul_f32_e32 v2, v164, v218
	s_mov_b32 s4, 0x8889
	v_fma_f32 v136, v163, v217, -v2
	v_mul_f32_e32 v2, v122, v220
	v_fma_f32 v145, v121, v219, -v2
	v_mul_f32_e32 v90, v90, v17
	v_fmac_f32_e32 v90, v91, v16
	v_mul_f32_e32 v91, v118, v9
	v_fmac_f32_e32 v91, v119, v8
	v_mov_b32_e32 v1, s11
	v_mul_f32_e32 v138, v34, v19
	v_fmac_f32_e32 v138, v35, v18
	v_fmac_f32_e32 v139, v39, v10
	;; [unrolled: 1-line block ×4, first 2 shown]
	v_mul_f32_e32 v129, v163, v218
	v_fmac_f32_e32 v129, v164, v217
	v_mul_f32_e32 v131, v167, v231
	v_mul_f32_e32 v126, v148, v5
	v_fmac_f32_e32 v131, v168, v230
	v_fmac_f32_e32 v126, v149, v4
	s_waitcnt vmcnt(4)
	v_mul_f32_e32 v120, v123, v15
	s_waitcnt vmcnt(3)
	v_mul_f32_e32 v114, v44, v23
	;; [unrolled: 2-line block ×3, first 2 shown]
	s_waitcnt vmcnt(1) lgkmcnt(4)
	v_mul_f32_e32 v2, v170, v29
	s_waitcnt vmcnt(0) lgkmcnt(0)
	v_mul_f32_e32 v0, v97, v226
	v_fma_f32 v111, v96, v225, -v0
	v_mul_u32_u24_sdwa v0, v33, s4 dst_sel:DWORD dst_unused:UNUSED_PAD src0_sel:WORD_0 src1_sel:DWORD
	v_lshrrev_b32_e32 v154, 20, v0
	v_fma_f32 v103, v169, v28, -v2
	v_mul_f32_e32 v2, v37, v31
	v_mul_lo_u16_e32 v0, 30, v154
	v_fma_f32 v115, v36, v30, -v2
	v_mul_f32_e32 v2, v174, v25
	v_sub_u16_e32 v155, v33, v0
	v_fma_f32 v108, v173, v24, -v2
	v_mul_f32_e32 v2, v41, v27
	v_mul_lo_u16_e32 v0, 0x48, v155
	v_fma_f32 v119, v40, v26, -v2
	v_mul_f32_e32 v2, v178, v21
	v_add_co_u32_e32 v0, vcc, s10, v0
	v_mul_f32_e32 v112, v36, v31
	v_fma_f32 v109, v177, v20, -v2
	v_mul_f32_e32 v2, v45, v23
	v_addc_co_u32_e32 v1, vcc, 0, v1, vcc
	v_fmac_f32_e32 v112, v37, v30
	v_fmac_f32_e32 v113, v41, v26
	v_fma_f32 v122, v44, v22, -v2
	v_fmac_f32_e32 v114, v45, v22
	global_load_dwordx4 v[32:35], v[0:1], off offset:208
	global_load_dwordx4 v[36:39], v[0:1], off offset:192
	;; [unrolled: 1-line block ×4, first 2 shown]
	global_load_dwordx2 v[223:224], v[0:1], off offset:224
	v_mul_f32_e32 v2, v182, v13
	v_fma_f32 v110, v181, v12, -v2
	v_mul_f32_e32 v2, v124, v15
	v_fma_f32 v127, v123, v14, -v2
	v_add_f32_e32 v1, v143, v144
	v_fma_f32 v1, -0.5, v1, v92
	v_mul_f32_e32 v96, v96, v226
	v_mov_b32_e32 v3, v1
	v_fmac_f32_e32 v96, v97, v225
	v_sub_f32_e32 v97, v139, v140
	v_mul_f32_e32 v107, v169, v29
	v_fmac_f32_e32 v120, v124, v14
	v_mul_f32_e32 v104, v173, v25
	v_fmac_f32_e32 v104, v174, v24
	v_mul_f32_e32 v105, v177, v21
	v_mul_f32_e32 v106, v181, v13
	v_fmac_f32_e32 v105, v178, v20
	v_fmac_f32_e32 v106, v182, v12
	;; [unrolled: 1-line block ×3, first 2 shown]
	s_waitcnt vmcnt(0)
	s_barrier
	v_mul_f32_e32 v124, v183, v33
	v_mul_f32_e32 v159, v161, v39
	v_fmac_f32_e32 v159, v162, v38
	v_mul_f32_e32 v2, v172, v45
	v_fma_f32 v121, v171, v44, -v2
	v_mul_f32_e32 v2, v117, v47
	v_fma_f32 v132, v116, v46, -v2
	v_mul_f32_e32 v130, v116, v47
	v_mul_f32_e32 v2, v176, v41
	v_fmac_f32_e32 v130, v117, v46
	v_fma_f32 v117, v175, v40, -v2
	v_mul_f32_e32 v2, v147, v43
	v_fma_f32 v158, v146, v42, -v2
	v_mul_f32_e32 v2, v180, v37
	;; [unrolled: 2-line block ×6, first 2 shown]
	v_mul_f32_e32 v163, v98, v224
	v_sub_f32_e32 v2, v138, v141
	v_fma_f32 v164, v98, v223, -v0
	v_fmac_f32_e32 v163, v99, v223
	v_fmac_f32_e32 v3, 0x3f737871, v2
	v_sub_f32_e32 v98, v142, v143
	v_sub_f32_e32 v99, v145, v144
	v_fmac_f32_e32 v1, 0xbf737871, v2
	v_fmac_f32_e32 v3, 0x3f167918, v97
	v_add_f32_e32 v98, v98, v99
	v_fmac_f32_e32 v1, 0xbf167918, v97
	v_fmac_f32_e32 v3, 0x3e9e377a, v98
	v_fmac_f32_e32 v1, 0x3e9e377a, v98
	v_add_f32_e32 v98, v142, v145
	v_add_f32_e32 v0, v92, v142
	v_fma_f32 v92, -0.5, v98, v92
	v_mov_b32_e32 v98, v92
	v_mul_f32_e32 v133, v146, v43
	v_fmac_f32_e32 v98, 0xbf737871, v97
	v_sub_f32_e32 v99, v143, v142
	v_sub_f32_e32 v146, v144, v145
	v_fmac_f32_e32 v92, 0x3f737871, v97
	v_add_f32_e32 v97, v139, v140
	v_fmac_f32_e32 v98, 0x3f167918, v2
	v_add_f32_e32 v99, v99, v146
	v_fmac_f32_e32 v92, 0xbf167918, v2
	v_fma_f32 v97, -0.5, v97, v93
	v_mul_f32_e32 v161, v165, v35
	v_add_f32_e32 v0, v0, v143
	v_fmac_f32_e32 v98, 0x3e9e377a, v99
	v_fmac_f32_e32 v92, 0x3e9e377a, v99
	v_sub_f32_e32 v99, v142, v145
	v_mov_b32_e32 v165, v97
	v_add_f32_e32 v0, v0, v144
	v_fmac_f32_e32 v165, 0xbf737871, v99
	v_sub_f32_e32 v142, v143, v144
	v_sub_f32_e32 v143, v138, v139
	v_sub_f32_e32 v144, v141, v140
	v_fmac_f32_e32 v97, 0x3f737871, v99
	v_fmac_f32_e32 v165, 0xbf167918, v142
	v_add_f32_e32 v143, v143, v144
	v_fmac_f32_e32 v97, 0x3f167918, v142
	v_fmac_f32_e32 v165, 0x3e9e377a, v143
	;; [unrolled: 1-line block ×3, first 2 shown]
	v_add_f32_e32 v143, v138, v141
	v_add_f32_e32 v2, v93, v138
	v_fma_f32 v93, -0.5, v143, v93
	v_fmac_f32_e32 v161, v166, v34
	v_mov_b32_e32 v166, v93
	v_add_f32_e32 v2, v2, v139
	v_fmac_f32_e32 v166, 0x3f737871, v142
	v_sub_f32_e32 v138, v139, v138
	v_sub_f32_e32 v139, v140, v141
	v_fmac_f32_e32 v93, 0xbf737871, v142
	v_fmac_f32_e32 v166, 0xbf167918, v99
	v_add_f32_e32 v138, v138, v139
	v_fmac_f32_e32 v93, 0x3f167918, v99
	v_fmac_f32_e32 v166, 0x3e9e377a, v138
	;; [unrolled: 1-line block ×3, first 2 shown]
	v_add_f32_e32 v138, v135, v136
	v_fma_f32 v138, -0.5, v138, v102
	v_add_f32_e32 v2, v2, v140
	v_sub_f32_e32 v139, v91, v131
	v_mov_b32_e32 v140, v138
	v_add_f32_e32 v2, v2, v141
	v_fmac_f32_e32 v140, 0x3f737871, v139
	v_sub_f32_e32 v141, v126, v129
	v_sub_f32_e32 v142, v134, v135
	;; [unrolled: 1-line block ×3, first 2 shown]
	v_fmac_f32_e32 v138, 0xbf737871, v139
	v_fmac_f32_e32 v140, 0x3f167918, v141
	v_add_f32_e32 v142, v142, v143
	v_fmac_f32_e32 v138, 0xbf167918, v141
	v_fmac_f32_e32 v140, 0x3e9e377a, v142
	;; [unrolled: 1-line block ×3, first 2 shown]
	v_add_f32_e32 v142, v134, v137
	v_add_f32_e32 v99, v102, v134
	v_fmac_f32_e32 v102, -0.5, v142
	v_mov_b32_e32 v143, v102
	v_add_f32_e32 v99, v99, v135
	v_fmac_f32_e32 v143, 0xbf737871, v141
	v_fmac_f32_e32 v102, 0x3f737871, v141
	v_add_f32_e32 v141, v126, v129
	v_add_f32_e32 v99, v99, v136
	v_sub_f32_e32 v142, v135, v134
	v_sub_f32_e32 v144, v136, v137
	v_fma_f32 v141, -0.5, v141, v90
	v_add_f32_e32 v99, v99, v137
	v_fmac_f32_e32 v143, 0x3f167918, v139
	v_add_f32_e32 v142, v142, v144
	v_fmac_f32_e32 v102, 0xbf167918, v139
	v_sub_f32_e32 v134, v134, v137
	v_mov_b32_e32 v137, v141
	v_fmac_f32_e32 v143, 0x3e9e377a, v142
	v_fmac_f32_e32 v102, 0x3e9e377a, v142
	;; [unrolled: 1-line block ×3, first 2 shown]
	v_sub_f32_e32 v135, v135, v136
	v_sub_f32_e32 v136, v91, v126
	;; [unrolled: 1-line block ×3, first 2 shown]
	v_fmac_f32_e32 v141, 0x3f737871, v134
	v_fmac_f32_e32 v137, 0xbf167918, v135
	v_add_f32_e32 v136, v136, v142
	v_fmac_f32_e32 v141, 0x3f167918, v135
	v_fmac_f32_e32 v137, 0x3e9e377a, v136
	v_fmac_f32_e32 v141, 0x3e9e377a, v136
	v_add_f32_e32 v136, v91, v131
	v_add_f32_e32 v139, v90, v91
	v_fmac_f32_e32 v90, -0.5, v136
	v_add_f32_e32 v139, v139, v126
	v_mov_b32_e32 v136, v90
	v_sub_f32_e32 v91, v126, v91
	v_sub_f32_e32 v126, v129, v131
	v_fmac_f32_e32 v90, 0xbf737871, v135
	v_add_f32_e32 v139, v139, v129
	v_add_f32_e32 v91, v91, v126
	v_fmac_f32_e32 v90, 0x3f167918, v134
	v_add_f32_e32 v139, v139, v131
	v_fmac_f32_e32 v136, 0x3f737871, v135
	v_fmac_f32_e32 v90, 0x3e9e377a, v91
	v_mul_f32_e32 v129, 0xbe9e377a, v102
	v_mul_f32_e32 v131, 0xbf4f1bbd, v138
	v_fmac_f32_e32 v136, 0xbf167918, v134
	v_fmac_f32_e32 v129, 0x3f737871, v90
	;; [unrolled: 1-line block ×4, first 2 shown]
	v_mul_f32_e32 v91, 0x3f167918, v137
	v_add_f32_e32 v144, v92, v129
	v_add_f32_e32 v134, v1, v131
	v_mul_f32_e32 v169, 0xbe9e377a, v90
	v_sub_f32_e32 v90, v92, v129
	v_sub_f32_e32 v92, v1, v131
	v_add_f32_e32 v1, v119, v122
	v_fmac_f32_e32 v91, 0x3f4f1bbd, v140
	v_mul_f32_e32 v126, 0x3f737871, v136
	v_mul_f32_e32 v168, 0xbf737871, v143
	v_fmac_f32_e32 v169, 0xbf737871, v102
	v_mul_f32_e32 v102, 0xbf4f1bbd, v141
	v_fma_f32 v1, -0.5, v1, v94
	v_fmac_f32_e32 v133, v147, v42
	v_add_f32_e32 v0, v0, v145
	v_add_f32_e32 v148, v3, v91
	v_fmac_f32_e32 v126, 0x3e9e377a, v143
	v_add_f32_e32 v147, v2, v139
	v_fmac_f32_e32 v168, 0x3e9e377a, v136
	v_fmac_f32_e32 v102, 0xbf167918, v138
	v_sub_f32_e32 v136, v3, v91
	v_sub_f32_e32 v141, v2, v139
	;; [unrolled: 1-line block ×3, first 2 shown]
	v_mov_b32_e32 v3, v1
	v_add_f32_e32 v146, v0, v99
	v_add_f32_e32 v142, v98, v126
	v_mul_f32_e32 v167, 0xbf167918, v140
	v_add_f32_e32 v145, v93, v169
	v_add_f32_e32 v135, v97, v102
	v_sub_f32_e32 v140, v0, v99
	v_sub_f32_e32 v138, v98, v126
	;; [unrolled: 1-line block ×4, first 2 shown]
	v_fmac_f32_e32 v3, 0x3f737871, v2
	v_sub_f32_e32 v97, v113, v114
	v_sub_f32_e32 v98, v115, v119
	;; [unrolled: 1-line block ×3, first 2 shown]
	v_fmac_f32_e32 v1, 0xbf737871, v2
	v_fmac_f32_e32 v3, 0x3f167918, v97
	v_add_f32_e32 v98, v98, v99
	v_fmac_f32_e32 v1, 0xbf167918, v97
	v_fmac_f32_e32 v3, 0x3e9e377a, v98
	;; [unrolled: 1-line block ×3, first 2 shown]
	v_add_f32_e32 v98, v115, v127
	v_add_f32_e32 v0, v94, v115
	v_fma_f32 v94, -0.5, v98, v94
	v_mov_b32_e32 v126, v94
	v_add_f32_e32 v0, v0, v119
	v_fmac_f32_e32 v126, 0xbf737871, v97
	v_fmac_f32_e32 v94, 0x3f737871, v97
	v_add_f32_e32 v97, v113, v114
	v_add_f32_e32 v0, v0, v122
	v_sub_f32_e32 v98, v119, v115
	v_sub_f32_e32 v99, v122, v127
	v_fma_f32 v129, -0.5, v97, v95
	v_add_f32_e32 v0, v0, v127
	v_fmac_f32_e32 v126, 0x3f167918, v2
	v_add_f32_e32 v98, v98, v99
	v_fmac_f32_e32 v94, 0xbf167918, v2
	v_sub_f32_e32 v97, v115, v127
	v_mov_b32_e32 v127, v129
	v_fmac_f32_e32 v126, 0x3e9e377a, v98
	v_fmac_f32_e32 v94, 0x3e9e377a, v98
	;; [unrolled: 1-line block ×3, first 2 shown]
	v_sub_f32_e32 v98, v119, v122
	v_sub_f32_e32 v99, v112, v113
	;; [unrolled: 1-line block ×3, first 2 shown]
	v_fmac_f32_e32 v129, 0x3f737871, v97
	v_fmac_f32_e32 v127, 0xbf167918, v98
	v_add_f32_e32 v99, v99, v102
	v_fmac_f32_e32 v129, 0x3f167918, v98
	v_fmac_f32_e32 v127, 0x3e9e377a, v99
	;; [unrolled: 1-line block ×3, first 2 shown]
	v_add_f32_e32 v99, v112, v120
	v_add_f32_e32 v2, v95, v112
	v_fmac_f32_e32 v95, -0.5, v99
	v_mov_b32_e32 v119, v95
	v_fmac_f32_e32 v119, 0x3f737871, v98
	v_fmac_f32_e32 v95, 0xbf737871, v98
	;; [unrolled: 1-line block ×4, first 2 shown]
	v_add_f32_e32 v97, v103, v108
	v_add_f32_e32 v97, v97, v109
	;; [unrolled: 1-line block ×3, first 2 shown]
	v_sub_f32_e32 v99, v113, v112
	v_sub_f32_e32 v102, v114, v120
	v_add_f32_e32 v112, v97, v111
	v_add_f32_e32 v97, v109, v110
	;; [unrolled: 1-line block ×4, first 2 shown]
	v_fma_f32 v113, -0.5, v97, v103
	v_fmac_f32_e32 v119, 0x3e9e377a, v99
	v_fmac_f32_e32 v95, 0x3e9e377a, v99
	v_sub_f32_e32 v97, v104, v96
	v_mov_b32_e32 v99, v113
	v_add_f32_e32 v2, v2, v114
	v_fmac_f32_e32 v99, 0x3f737871, v97
	v_sub_f32_e32 v98, v105, v106
	v_sub_f32_e32 v102, v108, v109
	;; [unrolled: 1-line block ×3, first 2 shown]
	v_fmac_f32_e32 v113, 0xbf737871, v97
	v_fmac_f32_e32 v99, 0x3f167918, v98
	v_add_f32_e32 v102, v102, v114
	v_fmac_f32_e32 v113, 0xbf167918, v98
	v_fmac_f32_e32 v99, 0x3e9e377a, v102
	;; [unrolled: 1-line block ×3, first 2 shown]
	v_add_f32_e32 v102, v108, v111
	v_fmac_f32_e32 v103, -0.5, v102
	v_mov_b32_e32 v114, v103
	v_fmac_f32_e32 v114, 0xbf737871, v98
	v_fmac_f32_e32 v103, 0x3f737871, v98
	;; [unrolled: 1-line block ×4, first 2 shown]
	v_add_f32_e32 v97, v107, v104
	v_add_f32_e32 v97, v97, v105
	v_sub_f32_e32 v102, v109, v108
	v_sub_f32_e32 v115, v110, v111
	v_add_f32_e32 v97, v97, v106
	v_add_f32_e32 v102, v102, v115
	;; [unrolled: 1-line block ×5, first 2 shown]
	v_fma_f32 v120, -0.5, v97, v107
	v_sub_f32_e32 v97, v108, v111
	v_mov_b32_e32 v108, v120
	v_fmac_f32_e32 v114, 0x3e9e377a, v102
	v_fmac_f32_e32 v103, 0x3e9e377a, v102
	;; [unrolled: 1-line block ×3, first 2 shown]
	v_sub_f32_e32 v98, v109, v110
	v_sub_f32_e32 v102, v104, v105
	;; [unrolled: 1-line block ×3, first 2 shown]
	v_fmac_f32_e32 v120, 0x3f737871, v97
	v_fmac_f32_e32 v108, 0xbf167918, v98
	v_add_f32_e32 v102, v102, v109
	v_fmac_f32_e32 v120, 0x3f167918, v98
	v_fmac_f32_e32 v108, 0x3e9e377a, v102
	;; [unrolled: 1-line block ×3, first 2 shown]
	v_add_f32_e32 v102, v104, v96
	v_fmac_f32_e32 v107, -0.5, v102
	v_mov_b32_e32 v109, v107
	v_fmac_f32_e32 v167, 0x3f4f1bbd, v137
	v_fmac_f32_e32 v109, 0x3f737871, v98
	v_sub_f32_e32 v102, v105, v104
	v_sub_f32_e32 v96, v106, v96
	v_fmac_f32_e32 v107, 0xbf737871, v98
	v_mul_f32_e32 v131, 0xbf4f1bbd, v113
	v_add_f32_e32 v149, v165, v167
	v_sub_f32_e32 v137, v165, v167
	v_fmac_f32_e32 v109, 0xbf167918, v97
	v_add_f32_e32 v96, v102, v96
	v_fmac_f32_e32 v107, 0x3f167918, v97
	v_fmac_f32_e32 v131, 0x3f167918, v120
	v_mul_f32_e32 v165, 0xbf167918, v99
	v_add_f32_e32 v143, v166, v168
	v_sub_f32_e32 v139, v166, v168
	v_fmac_f32_e32 v109, 0x3e9e377a, v96
	v_fmac_f32_e32 v107, 0x3e9e377a, v96
	v_mul_f32_e32 v110, 0x3f167918, v108
	v_add_f32_e32 v102, v1, v131
	v_fmac_f32_e32 v165, 0x3f4f1bbd, v108
	v_mul_f32_e32 v166, 0xbf737871, v114
	v_sub_f32_e32 v108, v1, v131
	v_add_f32_e32 v1, v158, v160
	v_fmac_f32_e32 v110, 0x3f4f1bbd, v99
	v_mul_f32_e32 v111, 0x3f737871, v109
	v_mul_f32_e32 v122, 0xbe9e377a, v103
	v_fmac_f32_e32 v166, 0x3e9e377a, v109
	v_mul_f32_e32 v109, 0xbe9e377a, v107
	v_mul_f32_e32 v120, 0xbf4f1bbd, v120
	v_fma_f32 v1, -0.5, v1, v88
	v_add_f32_e32 v104, v3, v110
	v_fmac_f32_e32 v122, 0x3f737871, v107
	v_add_f32_e32 v97, v2, v115
	v_fmac_f32_e32 v109, 0xbf737871, v103
	v_fmac_f32_e32 v120, 0xbf167918, v113
	v_sub_f32_e32 v110, v3, v110
	v_sub_f32_e32 v115, v2, v115
	;; [unrolled: 1-line block ×3, first 2 shown]
	v_mov_b32_e32 v3, v1
	v_add_f32_e32 v106, v94, v122
	v_add_f32_e32 v99, v119, v166
	;; [unrolled: 1-line block ×4, first 2 shown]
	v_sub_f32_e32 v94, v94, v122
	v_sub_f32_e32 v113, v119, v166
	;; [unrolled: 1-line block ×4, first 2 shown]
	v_fmac_f32_e32 v3, 0x3f737871, v2
	v_sub_f32_e32 v119, v133, v159
	v_sub_f32_e32 v120, v132, v158
	;; [unrolled: 1-line block ×3, first 2 shown]
	v_fmac_f32_e32 v1, 0xbf737871, v2
	v_fmac_f32_e32 v3, 0x3f167918, v119
	v_add_f32_e32 v120, v120, v122
	v_fmac_f32_e32 v1, 0xbf167918, v119
	v_fmac_f32_e32 v3, 0x3e9e377a, v120
	;; [unrolled: 1-line block ×3, first 2 shown]
	v_add_f32_e32 v120, v132, v162
	v_add_f32_e32 v96, v0, v112
	v_fmac_f32_e32 v111, 0x3e9e377a, v114
	v_sub_f32_e32 v114, v0, v112
	v_add_f32_e32 v0, v88, v132
	v_fma_f32 v88, -0.5, v120, v88
	v_add_f32_e32 v98, v126, v111
	v_sub_f32_e32 v112, v126, v111
	v_mov_b32_e32 v126, v88
	v_fmac_f32_e32 v126, 0xbf737871, v119
	v_fmac_f32_e32 v88, 0x3f737871, v119
	v_add_f32_e32 v119, v133, v159
	v_add_f32_e32 v105, v127, v165
	v_sub_f32_e32 v111, v127, v165
	v_sub_f32_e32 v120, v158, v132
	;; [unrolled: 1-line block ×3, first 2 shown]
	v_fma_f32 v127, -0.5, v119, v89
	v_fmac_f32_e32 v126, 0x3f167918, v2
	v_add_f32_e32 v120, v120, v122
	v_fmac_f32_e32 v88, 0xbf167918, v2
	v_sub_f32_e32 v119, v132, v162
	v_mov_b32_e32 v129, v127
	v_fmac_f32_e32 v126, 0x3e9e377a, v120
	v_fmac_f32_e32 v88, 0x3e9e377a, v120
	;; [unrolled: 1-line block ×3, first 2 shown]
	v_sub_f32_e32 v120, v158, v160
	v_sub_f32_e32 v122, v130, v133
	;; [unrolled: 1-line block ×3, first 2 shown]
	v_fmac_f32_e32 v127, 0x3f737871, v119
	v_fmac_f32_e32 v129, 0xbf167918, v120
	v_add_f32_e32 v122, v122, v131
	v_fmac_f32_e32 v127, 0x3f167918, v120
	v_fmac_f32_e32 v129, 0x3e9e377a, v122
	;; [unrolled: 1-line block ×3, first 2 shown]
	v_add_f32_e32 v122, v130, v161
	v_add_f32_e32 v2, v89, v130
	v_fmac_f32_e32 v89, -0.5, v122
	v_mov_b32_e32 v131, v89
	v_fmac_f32_e32 v131, 0x3f737871, v120
	v_fmac_f32_e32 v89, 0xbf737871, v120
	;; [unrolled: 1-line block ×4, first 2 shown]
	v_add_f32_e32 v119, v121, v117
	v_add_f32_e32 v119, v119, v123
	v_sub_f32_e32 v122, v133, v130
	v_sub_f32_e32 v130, v159, v161
	v_add_f32_e32 v119, v119, v128
	v_mul_f32_e32 v116, v175, v41
	v_add_f32_e32 v122, v122, v130
	v_add_f32_e32 v130, v119, v164
	;; [unrolled: 1-line block ×3, first 2 shown]
	v_fmac_f32_e32 v116, v176, v40
	v_mul_f32_e32 v118, v179, v37
	v_fma_f32 v132, -0.5, v119, v121
	v_fmac_f32_e32 v118, v180, v36
	v_fmac_f32_e32 v124, v184, v32
	v_add_f32_e32 v2, v2, v133
	v_sub_f32_e32 v119, v116, v163
	v_mov_b32_e32 v133, v132
	v_add_f32_e32 v0, v0, v158
	v_fmac_f32_e32 v131, 0x3e9e377a, v122
	v_fmac_f32_e32 v89, 0x3e9e377a, v122
	;; [unrolled: 1-line block ×3, first 2 shown]
	v_sub_f32_e32 v120, v118, v124
	v_sub_f32_e32 v122, v117, v123
	;; [unrolled: 1-line block ×3, first 2 shown]
	v_fmac_f32_e32 v132, 0xbf737871, v119
	v_fmac_f32_e32 v133, 0x3f167918, v120
	v_add_f32_e32 v122, v122, v158
	v_fmac_f32_e32 v132, 0xbf167918, v120
	v_fmac_f32_e32 v133, 0x3e9e377a, v122
	;; [unrolled: 1-line block ×3, first 2 shown]
	v_add_f32_e32 v122, v117, v164
	v_fmac_f32_e32 v121, -0.5, v122
	v_mul_f32_e32 v125, v171, v45
	v_mov_b32_e32 v158, v121
	v_fmac_f32_e32 v125, v172, v44
	v_fmac_f32_e32 v158, 0xbf737871, v120
	;; [unrolled: 1-line block ×5, first 2 shown]
	v_add_f32_e32 v119, v125, v116
	v_add_f32_e32 v119, v119, v118
	;; [unrolled: 1-line block ×3, first 2 shown]
	v_sub_f32_e32 v122, v123, v117
	v_sub_f32_e32 v159, v128, v164
	v_add_f32_e32 v119, v119, v124
	v_add_f32_e32 v122, v122, v159
	;; [unrolled: 1-line block ×5, first 2 shown]
	v_fma_f32 v160, -0.5, v119, v125
	v_sub_f32_e32 v117, v117, v164
	v_mov_b32_e32 v119, v160
	v_fmac_f32_e32 v158, 0x3e9e377a, v122
	v_fmac_f32_e32 v121, 0x3e9e377a, v122
	;; [unrolled: 1-line block ×3, first 2 shown]
	v_sub_f32_e32 v120, v123, v128
	v_sub_f32_e32 v122, v116, v118
	;; [unrolled: 1-line block ×3, first 2 shown]
	v_fmac_f32_e32 v160, 0x3f737871, v117
	v_fmac_f32_e32 v119, 0xbf167918, v120
	v_add_f32_e32 v122, v122, v123
	v_fmac_f32_e32 v160, 0x3f167918, v120
	v_fmac_f32_e32 v119, 0x3e9e377a, v122
	;; [unrolled: 1-line block ×3, first 2 shown]
	v_add_f32_e32 v122, v116, v163
	v_fmac_f32_e32 v125, -0.5, v122
	v_mov_b32_e32 v128, v125
	v_fmac_f32_e32 v128, 0x3f737871, v120
	v_sub_f32_e32 v116, v118, v116
	v_sub_f32_e32 v118, v124, v163
	v_fmac_f32_e32 v128, 0xbf167918, v117
	v_add_f32_e32 v116, v116, v118
	v_fmac_f32_e32 v125, 0xbf737871, v120
	v_mul_f32_e32 v164, 0xbf4f1bbd, v132
	v_add_f32_e32 v0, v0, v162
	v_fmac_f32_e32 v128, 0x3e9e377a, v116
	v_fmac_f32_e32 v125, 0x3f167918, v117
	;; [unrolled: 1-line block ×3, first 2 shown]
	v_mul_f32_e32 v160, 0xbf4f1bbd, v160
	v_fmac_f32_e32 v125, 0x3e9e377a, v116
	v_add_f32_e32 v116, v0, v130
	v_mul_f32_e32 v162, 0x3f737871, v128
	v_fmac_f32_e32 v160, 0xbf167918, v132
	v_sub_f32_e32 v132, v0, v130
	v_mul_u32_u24_e32 v0, 0x12c, v156
	v_fmac_f32_e32 v162, 0x3e9e377a, v158
	v_add_lshl_u32 v0, v0, v157, 3
	v_add_f32_e32 v118, v126, v162
	v_add_f32_e32 v120, v1, v164
	v_sub_f32_e32 v130, v126, v162
	v_sub_f32_e32 v126, v1, v164
	ds_write2_b64 v0, v[146:147], v[148:149] offset1:30
	ds_write2_b64 v0, v[142:143], v[144:145] offset0:60 offset1:90
	ds_write2_b64 v0, v[134:135], v[140:141] offset0:120 offset1:150
	;; [unrolled: 1-line block ×3, first 2 shown]
	buffer_store_dword v0, off, s[24:27], 0 offset:240 ; 4-byte Folded Spill
	v_add_u32_e32 v1, 0x400, v0
	v_mul_u32_u24_e32 v0, 0x12c, v150
	v_add_lshl_u32 v0, v0, v151, 3
	buffer_store_dword v1, off, s[24:27], 0 offset:228 ; 4-byte Folded Spill
	ds_write2_b64 v1, v[90:91], v[92:93] offset0:112 offset1:142
	buffer_store_dword v0, off, s[24:27], 0 offset:244 ; 4-byte Folded Spill
	ds_write2_b64 v0, v[96:97], v[104:105] offset1:30
	ds_write2_b64 v0, v[98:99], v[106:107] offset0:60 offset1:90
	ds_write2_b64 v0, v[102:103], v[114:115] offset0:120 offset1:150
	;; [unrolled: 1-line block ×3, first 2 shown]
	v_add_u32_e32 v1, 0x400, v0
	v_mad_legacy_u16 v0, v154, s2, v155
	v_mad_u64_u32 v[134:135], s[2:3], v227, s3, v[100:101]
	v_add_f32_e32 v2, v2, v161
	v_mul_f32_e32 v161, 0x3f167918, v119
	v_mul_f32_e32 v163, 0xbe9e377a, v121
	v_mul_f32_e32 v165, 0xbf167918, v133
	v_mul_f32_e32 v158, 0xbf737871, v158
	v_mul_f32_e32 v166, 0xbe9e377a, v125
	v_fmac_f32_e32 v161, 0x3f4f1bbd, v133
	v_fmac_f32_e32 v163, 0x3f737871, v125
	;; [unrolled: 1-line block ×5, first 2 shown]
	v_lshlrev_b32_e32 v248, 3, v0
	v_add_f32_e32 v122, v3, v161
	v_add_f32_e32 v124, v88, v163
	;; [unrolled: 1-line block ×7, first 2 shown]
	v_sub_f32_e32 v128, v3, v161
	v_sub_f32_e32 v88, v88, v163
	;; [unrolled: 1-line block ×7, first 2 shown]
	v_add_u32_e32 v0, 0x400, v248
	buffer_store_dword v1, off, s[24:27], 0 offset:232 ; 4-byte Folded Spill
	ds_write2_b64 v1, v[94:95], v[108:109] offset0:112 offset1:142
	ds_write2_b64 v248, v[116:117], v[122:123] offset1:30
	ds_write2_b64 v248, v[118:119], v[124:125] offset0:60 offset1:90
	ds_write2_b64 v248, v[120:121], v[132:133] offset0:120 offset1:150
	;; [unrolled: 1-line block ×3, first 2 shown]
	buffer_store_dword v0, off, s[24:27], 0 offset:236 ; 4-byte Folded Spill
	ds_write2_b64 v0, v[88:89], v[126:127] offset0:112 offset1:142
	s_waitcnt vmcnt(0) lgkmcnt(0)
	s_barrier
	ds_read2_b64 v[140:143], v249 offset1:100
	ds_read2_b64 v[136:139], v186 offset0:72 offset1:172
	ds_read2_b64 v[118:121], v185 offset0:88 offset1:188
	;; [unrolled: 1-line block ×14, first 2 shown]
	global_load_dwordx4 v[88:91], v[134:135], off offset:2368
	global_load_dwordx4 v[92:95], v[134:135], off offset:2352
	;; [unrolled: 1-line block ×4, first 2 shown]
	global_load_dwordx2 v[228:229], v[134:135], off offset:2384
	s_movk_i32 s2, 0x1c20
	s_waitcnt vmcnt(4) lgkmcnt(6)
	v_mul_f32_e32 v181, v130, v91
	s_waitcnt vmcnt(3)
	v_mul_f32_e32 v178, v126, v95
	s_waitcnt vmcnt(2)
	;; [unrolled: 2-line block ×3, first 2 shown]
	v_mul_f32_e32 v104, v139, v101
	v_fma_f32 v163, v138, v100, -v104
	v_mul_f32_e32 v104, v119, v103
	v_fma_f32 v179, v118, v102, -v104
	;; [unrolled: 2-line block ×7, first 2 shown]
	v_mul_f32_e32 v104, v131, v91
	v_add_co_u32_e32 v122, vcc, s2, v134
	v_mul_f32_e32 v176, v118, v103
	v_fmac_f32_e32 v177, v123, v98
	v_fma_f32 v183, v130, v90, -v104
	s_waitcnt vmcnt(0) lgkmcnt(5)
	v_mul_f32_e32 v104, v151, v229
	v_addc_co_u32_e32 v123, vcc, 0, v135, vcc
	v_fmac_f32_e32 v176, v119, v102
	v_fma_f32 v169, v150, v228, -v104
	global_load_dwordx4 v[104:107], v[122:123], off offset:2368
	global_load_dwordx4 v[108:111], v[122:123], off offset:2352
	;; [unrolled: 1-line block ×4, first 2 shown]
	global_load_dwordx2 v[221:222], v[122:123], off offset:2384
	v_mul_f32_e32 v165, v138, v101
	v_mul_f32_e32 v167, v150, v229
	v_fmac_f32_e32 v167, v151, v228
	v_fmac_f32_e32 v165, v139, v100
	s_movk_i32 s2, 0x3840
	v_fmac_f32_e32 v178, v127, v94
	v_fmac_f32_e32 v181, v131, v90
	v_mul_f32_e32 v154, v186, v97
	v_fmac_f32_e32 v154, v187, v96
	v_mul_f32_e32 v155, v207, v93
	v_mul_f32_e32 v162, v211, v89
	v_fmac_f32_e32 v155, v208, v92
	v_fmac_f32_e32 v162, v212, v88
	v_add_u32_e32 v212, 0x4800, v249
	s_waitcnt vmcnt(4) lgkmcnt(1)
	v_mul_f32_e32 v172, v0, v105
	s_waitcnt vmcnt(3)
	v_mul_f32_e32 v195, v128, v111
	s_waitcnt vmcnt(2)
	;; [unrolled: 2-line block ×3, first 2 shown]
	v_mul_f32_e32 v126, v158, v117
	v_fma_f32 v138, v157, v116, -v126
	v_mul_f32_e32 v126, v121, v119
	v_fma_f32 v188, v120, v118, -v126
	v_mul_f32_e32 v173, v120, v119
	v_mul_f32_e32 v120, v191, v113
	v_fma_f32 v151, v190, v112, -v120
	v_mul_f32_e32 v120, v125, v115
	v_fma_f32 v194, v124, v114, -v120
	v_mul_f32_e32 v120, v214, v109
	;; [unrolled: 5-line block ×3, first 2 shown]
	v_fma_f32 v175, v0, v104, -v120
	v_mul_f32_e32 v0, v133, v107
	v_fma_f32 v204, v132, v106, -v0
	s_waitcnt vmcnt(0) lgkmcnt(0)
	v_mul_f32_e32 v0, v145, v222
	v_fma_f32 v190, v144, v221, -v0
	v_add_co_u32_e32 v0, vcc, s2, v134
	v_fmac_f32_e32 v150, v191, v112
	v_mul_f32_e32 v191, v124, v115
	v_fmac_f32_e32 v172, v1, v104
	v_mul_f32_e32 v202, v132, v107
	v_addc_co_u32_e32 v1, vcc, 0, v135, vcc
	v_fmac_f32_e32 v173, v121, v118
	v_fmac_f32_e32 v191, v125, v114
	;; [unrolled: 1-line block ×4, first 2 shown]
	global_load_dwordx4 v[120:123], v[0:1], off offset:2368
	global_load_dwordx4 v[124:127], v[0:1], off offset:2352
	;; [unrolled: 1-line block ×4, first 2 shown]
	global_load_dwordx2 v[254:255], v[0:1], off offset:2384
	v_mul_f32_e32 v144, v144, v222
	v_fmac_f32_e32 v144, v145, v221
	v_fmac_f32_e32 v139, v158, v116
	v_add_f32_e32 v1, v180, v182
	v_fma_f32 v1, -0.5, v1, v140
	v_mul_f32_e32 v156, v213, v109
	v_fmac_f32_e32 v156, v214, v108
	s_movk_i32 s2, 0x5dc0
	s_waitcnt vmcnt(4)
	v_mul_f32_e32 v187, v2, v121
	v_fmac_f32_e32 v187, v3, v120
	s_waitcnt vmcnt(2)
	v_mul_f32_e32 v189, v205, v131
	s_waitcnt vmcnt(1)
	v_mul_f32_e32 v145, v160, v133
	v_fma_f32 v158, v159, v132, -v145
	v_mul_f32_e32 v145, v185, v135
	v_mul_f32_e32 v159, v159, v133
	v_fma_f32 v186, v184, v134, -v145
	v_mul_f32_e32 v145, v193, v129
	v_fmac_f32_e32 v159, v160, v132
	v_fma_f32 v161, v192, v128, -v145
	v_mul_f32_e32 v160, v192, v129
	v_mul_f32_e32 v145, v206, v131
	v_fmac_f32_e32 v160, v193, v128
	v_fma_f32 v193, v205, v130, -v145
	v_mul_f32_e32 v145, v216, v125
	v_fma_f32 v174, v215, v124, -v145
	v_mul_f32_e32 v145, v210, v127
	;; [unrolled: 2-line block ×4, first 2 shown]
	v_fmac_f32_e32 v189, v206, v130
	v_fma_f32 v206, v148, v122, -v2
	s_waitcnt vmcnt(0)
	v_mul_f32_e32 v0, v147, v255
	v_mul_f32_e32 v196, v146, v255
	v_sub_f32_e32 v2, v176, v181
	v_mov_b32_e32 v3, v1
	v_fma_f32 v201, v146, v254, -v0
	v_fmac_f32_e32 v196, v147, v254
	v_fmac_f32_e32 v3, 0x3f737871, v2
	v_sub_f32_e32 v145, v177, v178
	v_sub_f32_e32 v146, v179, v180
	;; [unrolled: 1-line block ×3, first 2 shown]
	v_fmac_f32_e32 v1, 0xbf737871, v2
	v_fmac_f32_e32 v3, 0x3f167918, v145
	v_add_f32_e32 v146, v146, v147
	v_fmac_f32_e32 v1, 0xbf167918, v145
	v_fmac_f32_e32 v3, 0x3e9e377a, v146
	;; [unrolled: 1-line block ×3, first 2 shown]
	v_add_f32_e32 v146, v179, v183
	v_fma_f32 v146, -0.5, v146, v140
	v_mov_b32_e32 v147, v146
	v_mul_f32_e32 v205, v148, v123
	v_add_f32_e32 v0, v140, v179
	v_fmac_f32_e32 v147, 0xbf737871, v145
	v_sub_f32_e32 v140, v180, v179
	v_sub_f32_e32 v148, v182, v183
	v_fmac_f32_e32 v146, 0x3f737871, v145
	v_fmac_f32_e32 v147, 0x3f167918, v2
	v_add_f32_e32 v140, v140, v148
	v_fmac_f32_e32 v146, 0xbf167918, v2
	v_fmac_f32_e32 v147, 0x3e9e377a, v140
	;; [unrolled: 1-line block ×3, first 2 shown]
	v_add_f32_e32 v140, v177, v178
	v_fma_f32 v140, -0.5, v140, v141
	v_fmac_f32_e32 v205, v149, v122
	v_sub_f32_e32 v148, v179, v183
	v_mov_b32_e32 v149, v140
	v_add_f32_e32 v0, v0, v180
	v_fmac_f32_e32 v149, 0xbf737871, v148
	v_sub_f32_e32 v179, v180, v182
	v_sub_f32_e32 v145, v176, v177
	;; [unrolled: 1-line block ×3, first 2 shown]
	v_fmac_f32_e32 v140, 0x3f737871, v148
	v_fmac_f32_e32 v149, 0xbf167918, v179
	v_add_f32_e32 v145, v145, v180
	v_fmac_f32_e32 v140, 0x3f167918, v179
	v_fmac_f32_e32 v149, 0x3e9e377a, v145
	;; [unrolled: 1-line block ×3, first 2 shown]
	v_add_f32_e32 v145, v176, v181
	v_add_f32_e32 v2, v141, v176
	v_fma_f32 v141, -0.5, v145, v141
	v_mov_b32_e32 v145, v141
	v_add_f32_e32 v2, v2, v177
	v_fmac_f32_e32 v145, 0x3f737871, v179
	v_sub_f32_e32 v176, v177, v176
	v_sub_f32_e32 v177, v178, v181
	v_fmac_f32_e32 v141, 0xbf737871, v179
	v_fmac_f32_e32 v145, 0xbf167918, v148
	v_add_f32_e32 v176, v176, v177
	v_fmac_f32_e32 v141, 0x3f167918, v148
	v_fmac_f32_e32 v145, 0x3e9e377a, v176
	;; [unrolled: 1-line block ×3, first 2 shown]
	v_add_f32_e32 v176, v166, v168
	v_fma_f32 v176, -0.5, v176, v163
	v_add_f32_e32 v2, v2, v178
	v_sub_f32_e32 v177, v154, v167
	v_mov_b32_e32 v178, v176
	v_add_f32_e32 v2, v2, v181
	v_fmac_f32_e32 v178, 0x3f737871, v177
	v_sub_f32_e32 v179, v155, v162
	v_sub_f32_e32 v180, v164, v166
	;; [unrolled: 1-line block ×3, first 2 shown]
	v_fmac_f32_e32 v176, 0xbf737871, v177
	v_fmac_f32_e32 v178, 0x3f167918, v179
	v_add_f32_e32 v180, v180, v181
	v_fmac_f32_e32 v176, 0xbf167918, v179
	v_fmac_f32_e32 v178, 0x3e9e377a, v180
	;; [unrolled: 1-line block ×3, first 2 shown]
	v_add_f32_e32 v180, v164, v169
	v_add_f32_e32 v148, v163, v164
	v_fmac_f32_e32 v163, -0.5, v180
	v_mov_b32_e32 v180, v163
	v_add_f32_e32 v148, v148, v166
	v_fmac_f32_e32 v180, 0xbf737871, v179
	v_fmac_f32_e32 v163, 0x3f737871, v179
	v_add_f32_e32 v179, v155, v162
	v_add_f32_e32 v0, v0, v182
	;; [unrolled: 1-line block ×3, first 2 shown]
	v_sub_f32_e32 v181, v166, v164
	v_sub_f32_e32 v182, v168, v169
	v_fma_f32 v179, -0.5, v179, v165
	v_add_f32_e32 v148, v148, v169
	v_fmac_f32_e32 v180, 0x3f167918, v177
	v_add_f32_e32 v181, v181, v182
	v_fmac_f32_e32 v163, 0xbf167918, v177
	v_sub_f32_e32 v164, v164, v169
	v_mov_b32_e32 v169, v179
	v_fmac_f32_e32 v180, 0x3e9e377a, v181
	v_fmac_f32_e32 v163, 0x3e9e377a, v181
	;; [unrolled: 1-line block ×3, first 2 shown]
	v_sub_f32_e32 v166, v166, v168
	v_sub_f32_e32 v168, v154, v155
	;; [unrolled: 1-line block ×3, first 2 shown]
	v_fmac_f32_e32 v179, 0x3f737871, v164
	v_fmac_f32_e32 v169, 0xbf167918, v166
	v_add_f32_e32 v168, v168, v181
	v_fmac_f32_e32 v179, 0x3f167918, v166
	v_fmac_f32_e32 v169, 0x3e9e377a, v168
	;; [unrolled: 1-line block ×3, first 2 shown]
	v_add_f32_e32 v168, v154, v167
	v_add_f32_e32 v177, v165, v154
	v_fmac_f32_e32 v165, -0.5, v168
	v_add_f32_e32 v177, v177, v155
	v_mov_b32_e32 v181, v165
	v_sub_f32_e32 v154, v155, v154
	v_sub_f32_e32 v155, v162, v167
	v_fmac_f32_e32 v165, 0xbf737871, v166
	v_mul_f32_e32 v207, 0xbf4f1bbd, v176
	v_mul_f32_e32 v171, v184, v135
	v_fmac_f32_e32 v181, 0x3f737871, v166
	v_add_f32_e32 v154, v154, v155
	v_fmac_f32_e32 v165, 0x3f167918, v164
	v_fmac_f32_e32 v207, 0x3f167918, v179
	v_mul_f32_e32 v211, 0xbf4f1bbd, v179
	v_fmac_f32_e32 v171, v185, v134
	v_mul_f32_e32 v197, v209, v127
	v_add_f32_e32 v177, v177, v162
	v_fmac_f32_e32 v181, 0xbf167918, v164
	v_fmac_f32_e32 v165, 0x3e9e377a, v154
	v_mul_f32_e32 v182, 0x3f167918, v169
	v_mul_f32_e32 v185, 0xbe9e377a, v163
	v_add_f32_e32 v162, v1, v207
	v_fmac_f32_e32 v211, 0xbf167918, v176
	v_sub_f32_e32 v176, v1, v207
	v_add_f32_e32 v1, v194, v200
	v_fmac_f32_e32 v197, v210, v126
	v_add_f32_e32 v177, v177, v167
	v_fmac_f32_e32 v181, 0x3e9e377a, v154
	v_fmac_f32_e32 v182, 0x3f4f1bbd, v178
	;; [unrolled: 1-line block ×3, first 2 shown]
	v_mul_f32_e32 v209, 0xbf737871, v180
	v_mul_f32_e32 v210, 0xbe9e377a, v165
	v_fma_f32 v1, -0.5, v1, v142
	v_add_f32_e32 v168, v3, v182
	v_add_f32_e32 v164, v146, v185
	;; [unrolled: 1-line block ×3, first 2 shown]
	v_mul_f32_e32 v208, 0xbf167918, v178
	v_fmac_f32_e32 v209, 0x3e9e377a, v181
	v_fmac_f32_e32 v210, 0xbf737871, v163
	v_sub_f32_e32 v182, v3, v182
	v_sub_f32_e32 v178, v146, v185
	;; [unrolled: 1-line block ×4, first 2 shown]
	v_mov_b32_e32 v3, v1
	v_add_f32_e32 v0, v0, v183
	v_mul_f32_e32 v183, 0x3f737871, v181
	v_add_f32_e32 v167, v145, v209
	v_add_f32_e32 v165, v141, v210
	;; [unrolled: 1-line block ×3, first 2 shown]
	v_sub_f32_e32 v181, v145, v209
	v_sub_f32_e32 v179, v141, v210
	;; [unrolled: 1-line block ×3, first 2 shown]
	v_fmac_f32_e32 v3, 0x3f737871, v2
	v_sub_f32_e32 v140, v191, v195
	v_sub_f32_e32 v141, v188, v194
	;; [unrolled: 1-line block ×3, first 2 shown]
	v_fmac_f32_e32 v1, 0xbf737871, v2
	v_fmac_f32_e32 v3, 0x3f167918, v140
	v_add_f32_e32 v141, v141, v145
	v_fmac_f32_e32 v1, 0xbf167918, v140
	v_fmac_f32_e32 v3, 0x3e9e377a, v141
	;; [unrolled: 1-line block ×3, first 2 shown]
	v_add_f32_e32 v141, v188, v204
	v_fma_f32 v141, -0.5, v141, v142
	v_add_f32_e32 v154, v0, v148
	v_sub_f32_e32 v184, v0, v148
	v_add_f32_e32 v0, v142, v188
	v_mov_b32_e32 v142, v141
	v_fmac_f32_e32 v142, 0xbf737871, v140
	v_sub_f32_e32 v145, v194, v188
	v_sub_f32_e32 v146, v200, v204
	v_fmac_f32_e32 v141, 0x3f737871, v140
	v_add_f32_e32 v140, v191, v195
	v_fmac_f32_e32 v142, 0x3f167918, v2
	v_add_f32_e32 v145, v145, v146
	v_fmac_f32_e32 v141, 0xbf167918, v2
	v_fma_f32 v207, -0.5, v140, v143
	v_fmac_f32_e32 v183, 0x3e9e377a, v180
	v_fmac_f32_e32 v142, 0x3e9e377a, v145
	;; [unrolled: 1-line block ×3, first 2 shown]
	v_sub_f32_e32 v140, v188, v204
	v_mov_b32_e32 v145, v207
	v_add_f32_e32 v166, v147, v183
	v_sub_f32_e32 v180, v147, v183
	v_fmac_f32_e32 v145, 0xbf737871, v140
	v_sub_f32_e32 v146, v194, v200
	v_sub_f32_e32 v147, v173, v191
	;; [unrolled: 1-line block ×3, first 2 shown]
	v_fmac_f32_e32 v207, 0x3f737871, v140
	v_fmac_f32_e32 v145, 0xbf167918, v146
	v_add_f32_e32 v147, v147, v148
	v_fmac_f32_e32 v207, 0x3f167918, v146
	v_fmac_f32_e32 v145, 0x3e9e377a, v147
	v_fmac_f32_e32 v207, 0x3e9e377a, v147
	v_add_f32_e32 v147, v173, v202
	v_add_f32_e32 v2, v143, v173
	v_fmac_f32_e32 v143, -0.5, v147
	v_mov_b32_e32 v188, v143
	v_fmac_f32_e32 v188, 0x3f737871, v146
	v_sub_f32_e32 v147, v191, v173
	v_sub_f32_e32 v148, v195, v202
	v_fmac_f32_e32 v143, 0xbf737871, v146
	v_add_f32_e32 v146, v157, v175
	v_fmac_f32_e32 v188, 0xbf167918, v140
	v_add_f32_e32 v147, v147, v148
	v_fmac_f32_e32 v143, 0x3f167918, v140
	v_fma_f32 v146, -0.5, v146, v138
	v_fmac_f32_e32 v208, 0x3f4f1bbd, v169
	v_fmac_f32_e32 v188, 0x3e9e377a, v147
	;; [unrolled: 1-line block ×3, first 2 shown]
	v_sub_f32_e32 v147, v150, v144
	v_mov_b32_e32 v148, v146
	v_add_f32_e32 v169, v149, v208
	v_sub_f32_e32 v183, v149, v208
	v_add_f32_e32 v2, v2, v191
	v_fmac_f32_e32 v148, 0x3f737871, v147
	v_sub_f32_e32 v149, v156, v172
	v_sub_f32_e32 v173, v151, v157
	;; [unrolled: 1-line block ×3, first 2 shown]
	v_fmac_f32_e32 v146, 0xbf737871, v147
	v_fmac_f32_e32 v148, 0x3f167918, v149
	v_add_f32_e32 v173, v173, v191
	v_fmac_f32_e32 v146, 0xbf167918, v149
	v_fmac_f32_e32 v148, 0x3e9e377a, v173
	;; [unrolled: 1-line block ×3, first 2 shown]
	v_add_f32_e32 v173, v151, v190
	v_add_f32_e32 v140, v138, v151
	v_fmac_f32_e32 v138, -0.5, v173
	v_mov_b32_e32 v173, v138
	v_add_f32_e32 v0, v0, v194
	v_fmac_f32_e32 v173, 0xbf737871, v149
	v_sub_f32_e32 v191, v157, v151
	v_sub_f32_e32 v194, v175, v190
	v_fmac_f32_e32 v138, 0x3f737871, v149
	v_add_f32_e32 v149, v156, v172
	v_add_f32_e32 v140, v140, v157
	v_fmac_f32_e32 v173, 0x3f167918, v147
	v_add_f32_e32 v191, v191, v194
	v_fmac_f32_e32 v138, 0xbf167918, v147
	v_fma_f32 v149, -0.5, v149, v139
	v_add_f32_e32 v140, v140, v175
	v_fmac_f32_e32 v173, 0x3e9e377a, v191
	v_fmac_f32_e32 v138, 0x3e9e377a, v191
	v_sub_f32_e32 v151, v151, v190
	v_mov_b32_e32 v191, v149
	v_add_f32_e32 v140, v140, v190
	v_fmac_f32_e32 v191, 0xbf737871, v151
	v_sub_f32_e32 v157, v157, v175
	v_sub_f32_e32 v175, v150, v156
	;; [unrolled: 1-line block ×3, first 2 shown]
	v_fmac_f32_e32 v149, 0x3f737871, v151
	v_add_f32_e32 v147, v139, v150
	v_fmac_f32_e32 v191, 0xbf167918, v157
	v_add_f32_e32 v175, v175, v190
	v_fmac_f32_e32 v149, 0x3f167918, v157
	v_add_f32_e32 v147, v147, v156
	v_fmac_f32_e32 v191, 0x3e9e377a, v175
	v_fmac_f32_e32 v149, 0x3e9e377a, v175
	v_add_f32_e32 v175, v150, v144
	v_add_f32_e32 v147, v147, v172
	v_fmac_f32_e32 v139, -0.5, v175
	v_add_f32_e32 v147, v147, v144
	v_mov_b32_e32 v175, v139
	v_sub_f32_e32 v150, v156, v150
	v_sub_f32_e32 v144, v172, v144
	v_fmac_f32_e32 v139, 0xbf737871, v157
	v_add_f32_e32 v0, v0, v200
	v_add_f32_e32 v2, v2, v195
	v_add_f32_e32 v144, v150, v144
	v_fmac_f32_e32 v139, 0x3f167918, v151
	v_add_f32_e32 v0, v0, v204
	v_add_f32_e32 v2, v2, v202
	v_fmac_f32_e32 v175, 0x3f737871, v157
	v_fmac_f32_e32 v139, 0x3e9e377a, v144
	v_mul_f32_e32 v202, 0xbe9e377a, v138
	v_mul_f32_e32 v204, 0xbf4f1bbd, v146
	v_fmac_f32_e32 v175, 0xbf167918, v151
	v_fmac_f32_e32 v202, 0x3f737871, v139
	;; [unrolled: 1-line block ×3, first 2 shown]
	v_mul_f32_e32 v139, 0xbe9e377a, v139
	v_fmac_f32_e32 v175, 0x3e9e377a, v144
	v_mul_f32_e32 v144, 0x3f167918, v191
	v_add_f32_e32 v150, v1, v204
	v_mul_f32_e32 v209, 0xbf737871, v173
	v_fmac_f32_e32 v139, 0xbf737871, v138
	v_sub_f32_e32 v138, v1, v204
	v_add_f32_e32 v1, v193, v203
	v_fmac_f32_e32 v144, 0x3f4f1bbd, v148
	v_mul_f32_e32 v200, 0x3f737871, v175
	v_fmac_f32_e32 v209, 0x3e9e377a, v175
	v_mul_f32_e32 v175, 0xbf4f1bbd, v149
	v_fma_f32 v1, -0.5, v1, v136
	v_add_f32_e32 v190, v3, v144
	v_fmac_f32_e32 v200, 0x3e9e377a, v173
	v_add_f32_e32 v195, v2, v147
	v_fmac_f32_e32 v175, 0xbf167918, v146
	v_sub_f32_e32 v146, v3, v144
	v_sub_f32_e32 v149, v2, v147
	;; [unrolled: 1-line block ×3, first 2 shown]
	v_mov_b32_e32 v3, v1
	v_add_f32_e32 v194, v0, v140
	v_add_f32_e32 v172, v142, v200
	;; [unrolled: 1-line block ×3, first 2 shown]
	v_mul_f32_e32 v208, 0xbf167918, v148
	v_add_f32_e32 v157, v143, v139
	v_add_f32_e32 v151, v207, v175
	v_sub_f32_e32 v148, v0, v140
	v_sub_f32_e32 v144, v142, v200
	;; [unrolled: 1-line block ×5, first 2 shown]
	v_fmac_f32_e32 v3, 0x3f737871, v2
	v_sub_f32_e32 v142, v189, v197
	v_sub_f32_e32 v143, v186, v193
	;; [unrolled: 1-line block ×3, first 2 shown]
	v_fmac_f32_e32 v1, 0xbf737871, v2
	v_fmac_f32_e32 v3, 0x3f167918, v142
	v_add_f32_e32 v143, v143, v175
	v_fmac_f32_e32 v1, 0xbf167918, v142
	v_fmac_f32_e32 v3, 0x3e9e377a, v143
	;; [unrolled: 1-line block ×3, first 2 shown]
	v_add_f32_e32 v143, v186, v206
	v_add_f32_e32 v0, v136, v186
	v_fma_f32 v136, -0.5, v143, v136
	v_mov_b32_e32 v143, v136
	v_fmac_f32_e32 v208, 0x3f4f1bbd, v191
	v_fmac_f32_e32 v143, 0xbf737871, v142
	;; [unrolled: 1-line block ×3, first 2 shown]
	v_add_f32_e32 v142, v189, v197
	v_add_f32_e32 v191, v145, v208
	;; [unrolled: 1-line block ×3, first 2 shown]
	v_sub_f32_e32 v147, v145, v208
	v_sub_f32_e32 v145, v188, v209
	;; [unrolled: 1-line block ×4, first 2 shown]
	v_fma_f32 v200, -0.5, v142, v137
	v_fmac_f32_e32 v143, 0x3f167918, v2
	v_add_f32_e32 v175, v175, v188
	v_fmac_f32_e32 v136, 0xbf167918, v2
	v_sub_f32_e32 v142, v186, v206
	v_mov_b32_e32 v202, v200
	v_fmac_f32_e32 v143, 0x3e9e377a, v175
	v_fmac_f32_e32 v136, 0x3e9e377a, v175
	v_fmac_f32_e32 v202, 0xbf737871, v142
	v_sub_f32_e32 v175, v193, v203
	v_sub_f32_e32 v186, v171, v189
	;; [unrolled: 1-line block ×3, first 2 shown]
	v_fmac_f32_e32 v200, 0x3f737871, v142
	v_fmac_f32_e32 v202, 0xbf167918, v175
	v_add_f32_e32 v186, v186, v188
	v_fmac_f32_e32 v200, 0x3f167918, v175
	v_fmac_f32_e32 v202, 0x3e9e377a, v186
	;; [unrolled: 1-line block ×3, first 2 shown]
	v_add_f32_e32 v186, v171, v205
	v_add_f32_e32 v0, v0, v193
	;; [unrolled: 1-line block ×3, first 2 shown]
	v_fmac_f32_e32 v137, -0.5, v186
	v_add_f32_e32 v0, v0, v203
	v_mov_b32_e32 v203, v137
	v_fmac_f32_e32 v203, 0x3f737871, v175
	v_sub_f32_e32 v171, v189, v171
	v_sub_f32_e32 v186, v197, v205
	v_fmac_f32_e32 v137, 0xbf737871, v175
	v_fmac_f32_e32 v203, 0xbf167918, v142
	v_add_f32_e32 v171, v171, v186
	v_fmac_f32_e32 v137, 0x3f167918, v142
	v_fmac_f32_e32 v203, 0x3e9e377a, v171
	;; [unrolled: 1-line block ×3, first 2 shown]
	v_add_f32_e32 v171, v174, v192
	v_mul_f32_e32 v170, v215, v125
	v_fma_f32 v171, -0.5, v171, v158
	v_fmac_f32_e32 v170, v216, v124
	v_add_f32_e32 v2, v2, v189
	v_sub_f32_e32 v175, v160, v196
	v_mov_b32_e32 v189, v171
	v_fmac_f32_e32 v189, 0x3f737871, v175
	v_sub_f32_e32 v186, v170, v187
	v_sub_f32_e32 v188, v161, v174
	;; [unrolled: 1-line block ×3, first 2 shown]
	v_fmac_f32_e32 v171, 0xbf737871, v175
	v_fmac_f32_e32 v189, 0x3f167918, v186
	v_add_f32_e32 v188, v188, v193
	v_fmac_f32_e32 v171, 0xbf167918, v186
	v_fmac_f32_e32 v189, 0x3e9e377a, v188
	v_fmac_f32_e32 v171, 0x3e9e377a, v188
	v_add_f32_e32 v188, v161, v201
	v_add_f32_e32 v142, v158, v161
	v_fmac_f32_e32 v158, -0.5, v188
	v_mov_b32_e32 v204, v158
	v_fmac_f32_e32 v204, 0xbf737871, v186
	v_fmac_f32_e32 v158, 0x3f737871, v186
	;; [unrolled: 1-line block ×4, first 2 shown]
	v_add_f32_e32 v175, v159, v160
	v_add_f32_e32 v175, v175, v170
	;; [unrolled: 1-line block ×7, first 2 shown]
	v_sub_f32_e32 v188, v174, v161
	v_sub_f32_e32 v193, v192, v201
	v_fma_f32 v175, -0.5, v175, v159
	v_add_f32_e32 v188, v188, v193
	v_sub_f32_e32 v161, v161, v201
	v_mov_b32_e32 v193, v175
	v_add_f32_e32 v142, v142, v174
	v_fmac_f32_e32 v204, 0x3e9e377a, v188
	v_fmac_f32_e32 v158, 0x3e9e377a, v188
	;; [unrolled: 1-line block ×3, first 2 shown]
	v_sub_f32_e32 v174, v174, v192
	v_sub_f32_e32 v186, v160, v170
	;; [unrolled: 1-line block ×3, first 2 shown]
	v_fmac_f32_e32 v175, 0x3f737871, v161
	v_fmac_f32_e32 v193, 0xbf167918, v174
	v_add_f32_e32 v186, v186, v188
	v_fmac_f32_e32 v175, 0x3f167918, v174
	v_fmac_f32_e32 v193, 0x3e9e377a, v186
	;; [unrolled: 1-line block ×3, first 2 shown]
	v_add_f32_e32 v186, v160, v196
	v_add_f32_e32 v142, v142, v192
	v_fmac_f32_e32 v159, -0.5, v186
	v_add_f32_e32 v142, v142, v201
	v_mov_b32_e32 v201, v159
	v_fmac_f32_e32 v201, 0x3f737871, v174
	v_sub_f32_e32 v160, v170, v160
	v_sub_f32_e32 v170, v187, v196
	v_fmac_f32_e32 v201, 0xbf167918, v161
	v_add_f32_e32 v160, v160, v170
	v_fmac_f32_e32 v201, 0x3e9e377a, v160
	v_fmac_f32_e32 v159, 0xbf737871, v174
	;; [unrolled: 1-line block ×3, first 2 shown]
	v_mul_f32_e32 v161, 0x3f737871, v201
	v_fmac_f32_e32 v159, 0x3e9e377a, v160
	v_mul_f32_e32 v160, 0x3f167918, v193
	v_fmac_f32_e32 v161, 0x3e9e377a, v204
	v_mul_f32_e32 v208, 0xbf167918, v189
	v_mul_f32_e32 v204, 0xbf737871, v204
	v_add_f32_e32 v0, v0, v206
	v_fmac_f32_e32 v160, 0x3f4f1bbd, v189
	v_mul_f32_e32 v206, 0xbe9e377a, v158
	v_mul_f32_e32 v207, 0xbf4f1bbd, v171
	v_fmac_f32_e32 v208, 0x3f4f1bbd, v193
	v_fmac_f32_e32 v204, 0x3e9e377a, v201
	v_mul_f32_e32 v201, 0xbe9e377a, v159
	v_mul_f32_e32 v209, 0xbf4f1bbd, v175
	v_add_f32_e32 v196, v0, v142
	v_add_f32_e32 v192, v3, v160
	v_fmac_f32_e32 v206, 0x3f737871, v159
	v_fmac_f32_e32 v207, 0x3f167918, v175
	v_add_f32_e32 v197, v2, v205
	v_add_f32_e32 v193, v202, v208
	v_fmac_f32_e32 v201, 0xbf737871, v158
	v_fmac_f32_e32 v209, 0xbf167918, v171
	v_add_f32_e32 v188, v143, v161
	v_add_f32_e32 v186, v136, v206
	;; [unrolled: 1-line block ×6, first 2 shown]
	v_sub_f32_e32 v170, v0, v142
	v_sub_f32_e32 v158, v143, v161
	;; [unrolled: 1-line block ×8, first 2 shown]
	ds_write_b64 v249, v[168:169] offset:2400
	ds_write_b64 v249, v[166:167] offset:4800
	;; [unrolled: 1-line block ×9, first 2 shown]
	ds_write2_b64 v249, v[154:155], v[194:195] offset1:100
	ds_write_b64 v249, v[196:197] offset:1600
	v_mov_b32_e32 v194, v232
	ds_write2_b64 v232, v[190:191], v[192:193] offset0:144 offset1:244
	v_add_u32_e32 v197, 0x1400, v249
	v_add_u32_e32 v216, 0x1c00, v249
	v_add_u32_e32 v232, 0x2800, v249
	v_add_u32_e32 v195, 0x3000, v249
	v_add_u32_e32 v206, 0x4000, v249
	v_add_u32_e32 v201, 0x4c00, v249
	v_add_u32_e32 v196, 0x5400, v249
	v_sub_f32_e32 v160, v3, v160
	v_sub_f32_e32 v161, v202, v208
	ds_write2_b64 v197, v[172:173], v[188:189] offset0:60 offset1:160
	ds_write2_b64 v216, v[156:157], v[186:187] offset0:104 offset1:204
	;; [unrolled: 1-line block ×8, first 2 shown]
	s_waitcnt lgkmcnt(0)
	s_barrier
	global_load_dwordx2 v[136:137], v[152:153], off offset:3520
	ds_read2_b64 v[0:3], v249 offset1:100
	v_add_co_u32_e32 v160, vcc, s2, v198
	v_addc_co_u32_e32 v161, vcc, 0, v199, vcc
	v_add_u32_e32 v205, 0x400, v249
	s_movk_i32 s2, 0x7000
	v_add_co_u32_e32 v162, vcc, s2, v198
	v_addc_co_u32_e32 v163, vcc, 0, v199, vcc
	v_add_u32_e32 v203, 0x1000, v249
	v_add_u32_e32 v202, 0x1800, v249
	s_mov_b32 s2, 0x8000
	v_add_co_u32_e32 v158, vcc, s2, v198
	v_addc_co_u32_e32 v159, vcc, 0, v199, vcc
	v_add_u32_e32 v204, 0x2400, v249
	s_mov_b32 s2, 0x9000
	v_add_u32_e32 v208, 0x3c00, v249
	v_add_u32_e32 v200, 0x5000, v249
	s_waitcnt vmcnt(0) lgkmcnt(0)
	v_mul_f32_e32 v138, v1, v137
	v_mul_f32_e32 v139, v0, v137
	v_fma_f32 v138, v0, v136, -v138
	v_fmac_f32_e32 v139, v1, v136
	global_load_dwordx2 v[0:1], v[160:161], off offset:2400
	ds_write_b64 v249, v[138:139]
	ds_read2_b64 v[152:155], v205 offset0:72 offset1:172
	ds_read2_b64 v[167:170], v203 offset0:88 offset1:188
	ds_read2_b64 v[148:151], v202 offset0:32 offset1:132
	ds_read2_b64 v[171:174], v204 offset0:48 offset1:148
	ds_read2_b64 v[144:147], v232 offset0:120 offset1:220
	ds_read2_b64 v[175:178], v247 offset0:8 offset1:108
	ds_read2_b64 v[140:143], v208 offset0:80 offset1:180
	ds_read2_b64 v[179:182], v212 offset0:96 offset1:196
	s_waitcnt vmcnt(0) lgkmcnt(7)
	v_mul_f32_e32 v136, v155, v1
	v_mul_f32_e32 v184, v154, v1
	v_fma_f32 v183, v154, v0, -v136
	v_fmac_f32_e32 v184, v155, v0
	global_load_dwordx2 v[0:1], v[162:163], off offset:128
	s_waitcnt vmcnt(0) lgkmcnt(6)
	v_mul_f32_e32 v136, v168, v1
	v_fma_f32 v166, v167, v0, -v136
	v_mul_f32_e32 v167, v167, v1
	v_fmac_f32_e32 v167, v168, v0
	global_load_dwordx2 v[0:1], v[162:163], off offset:2528
	s_waitcnt vmcnt(0) lgkmcnt(5)
	v_mul_f32_e32 v136, v151, v1
	v_mul_f32_e32 v186, v150, v1
	v_fma_f32 v185, v150, v0, -v136
	v_fmac_f32_e32 v186, v151, v0
	global_load_dwordx2 v[0:1], v[158:159], off offset:832
	v_add_co_u32_e32 v150, vcc, s2, v198
	v_addc_co_u32_e32 v151, vcc, 0, v199, vcc
	s_mov_b32 s2, 0xa000
	s_waitcnt vmcnt(0) lgkmcnt(4)
	v_mul_f32_e32 v136, v172, v1
	v_mul_f32_e32 v165, v171, v1
	v_fma_f32 v164, v171, v0, -v136
	v_fmac_f32_e32 v165, v172, v0
	global_load_dwordx2 v[0:1], v[158:159], off offset:3232
	global_load_dwordx2 v[171:172], v[160:161], off offset:3200
	s_waitcnt vmcnt(1) lgkmcnt(3)
	v_mul_f32_e32 v136, v147, v1
	v_mul_f32_e32 v188, v146, v1
	v_fma_f32 v187, v146, v0, -v136
	v_fmac_f32_e32 v188, v147, v0
	global_load_dwordx2 v[0:1], v[150:151], off offset:1536
	v_add_co_u32_e32 v146, vcc, s2, v198
	v_addc_co_u32_e32 v147, vcc, 0, v199, vcc
	s_mov_b32 s2, 0xb000
	s_waitcnt vmcnt(0) lgkmcnt(2)
	v_mul_f32_e32 v136, v176, v1
	v_mul_f32_e32 v157, v175, v1
	v_fma_f32 v156, v175, v0, -v136
	v_fmac_f32_e32 v157, v176, v0
	global_load_dwordx2 v[0:1], v[150:151], off offset:3936
	s_waitcnt vmcnt(0) lgkmcnt(1)
	v_mul_f32_e32 v136, v143, v1
	v_mul_f32_e32 v190, v142, v1
	v_fma_f32 v189, v142, v0, -v136
	v_fmac_f32_e32 v190, v143, v0
	global_load_dwordx2 v[0:1], v[146:147], off offset:2240
	v_add_co_u32_e32 v142, vcc, s2, v198
	v_addc_co_u32_e32 v143, vcc, 0, v199, vcc
	v_mov_b32_e32 v198, v194
	s_mov_b32 s2, 0xc3ece2a5
	s_mov_b32 s3, 0x3f35d867
	s_waitcnt vmcnt(0) lgkmcnt(0)
	v_mul_f32_e32 v136, v180, v1
	v_mul_f32_e32 v155, v179, v1
	v_fma_f32 v154, v179, v0, -v136
	v_fmac_f32_e32 v155, v180, v0
	global_load_dwordx2 v[0:1], v[142:143], off offset:544
	ds_read2_b64 v[136:139], v200 offset0:40 offset1:140
	s_waitcnt vmcnt(0) lgkmcnt(0)
	v_mul_f32_e32 v168, v139, v1
	v_mul_f32_e32 v192, v138, v1
	v_fma_f32 v191, v138, v0, -v168
	v_fmac_f32_e32 v192, v139, v0
	global_load_dwordx2 v[0:1], v[160:161], off offset:800
	s_waitcnt vmcnt(0)
	v_mul_f32_e32 v138, v3, v1
	v_mul_f32_e32 v139, v2, v1
	v_fma_f32 v138, v2, v0, -v138
	v_fmac_f32_e32 v139, v3, v0
	ds_read2_b64 v[0:3], v194 offset0:144 offset1:244
	s_waitcnt lgkmcnt(0)
	v_mul_f32_e32 v168, v1, v172
	v_mul_f32_e32 v176, v0, v172
	v_fma_f32 v175, v0, v171, -v168
	v_fmac_f32_e32 v176, v1, v171
	global_load_dwordx2 v[0:1], v[162:163], off offset:928
	ds_write2_b64 v194, v[183:184], v[175:176] offset0:44 offset1:144
	s_waitcnt vmcnt(0)
	v_mul_f32_e32 v168, v170, v1
	v_mul_f32_e32 v194, v169, v1
	v_fma_f32 v193, v169, v0, -v168
	v_fmac_f32_e32 v194, v170, v0
	global_load_dwordx2 v[0:1], v[162:163], off offset:3328
	ds_read2_b64 v[168:171], v216 offset0:104 offset1:204
	s_waitcnt vmcnt(0) lgkmcnt(0)
	v_mul_f32_e32 v172, v169, v1
	v_mul_f32_e32 v176, v168, v1
	v_fma_f32 v175, v168, v0, -v172
	v_fmac_f32_e32 v176, v169, v0
	global_load_dwordx2 v[0:1], v[158:159], off offset:1632
	ds_write2_b64 v202, v[185:186], v[175:176] offset0:132 offset1:232
	v_mov_b32_e32 v186, v206
	s_waitcnt vmcnt(0)
	v_mul_f32_e32 v168, v174, v1
	v_mul_f32_e32 v169, v173, v1
	v_fma_f32 v168, v173, v0, -v168
	v_fmac_f32_e32 v169, v174, v0
	global_load_dwordx2 v[0:1], v[158:159], off offset:4032
	ds_read2_b64 v[172:175], v195 offset0:64 offset1:164
	s_waitcnt vmcnt(0) lgkmcnt(0)
	v_mul_f32_e32 v176, v173, v1
	v_mul_f32_e32 v180, v172, v1
	v_fma_f32 v179, v172, v0, -v176
	v_fmac_f32_e32 v180, v173, v0
	v_add_u32_e32 v0, 0x2c00, v249
	ds_write2_b64 v0, v[187:188], v[179:180] offset0:92 offset1:192
	global_load_dwordx2 v[0:1], v[150:151], off offset:2336
	s_waitcnt vmcnt(0)
	v_mul_f32_e32 v172, v178, v1
	v_mul_f32_e32 v173, v177, v1
	v_fma_f32 v172, v177, v0, -v172
	v_fmac_f32_e32 v173, v178, v0
	global_load_dwordx2 v[0:1], v[146:147], off offset:640
	ds_read2_b64 v[176:179], v206 offset0:152 offset1:252
	s_waitcnt vmcnt(0) lgkmcnt(0)
	v_mul_f32_e32 v180, v177, v1
	v_mul_f32_e32 v184, v176, v1
	v_fma_f32 v183, v176, v0, -v180
	v_fmac_f32_e32 v184, v177, v0
	global_load_dwordx2 v[0:1], v[146:147], off offset:3040
	ds_write2_b64 v206, v[189:190], v[183:184] offset0:52 offset1:152
	s_waitcnt vmcnt(0)
	v_mul_f32_e32 v176, v182, v1
	v_mul_f32_e32 v177, v181, v1
	v_fma_f32 v176, v181, v0, -v176
	v_fmac_f32_e32 v177, v182, v0
	global_load_dwordx2 v[0:1], v[142:143], off offset:1344
	ds_read2_b64 v[180:183], v196 offset0:112 offset1:212
	s_waitcnt vmcnt(0) lgkmcnt(0)
	v_mul_f32_e32 v184, v181, v1
	v_mul_f32_e32 v185, v180, v1
	v_fma_f32 v184, v180, v0, -v184
	v_fmac_f32_e32 v185, v181, v0
	global_load_dwordx2 v[0:1], v[160:161], off offset:1600
	ds_write2_b64 v200, v[191:192], v[184:185] offset0:140 offset1:240
	v_mov_b32_e32 v184, v200
	s_waitcnt vmcnt(0)
	v_mul_f32_e32 v180, v153, v1
	v_mul_f32_e32 v181, v152, v1
	v_fma_f32 v180, v152, v0, -v180
	v_fmac_f32_e32 v181, v153, v0
	global_load_dwordx2 v[0:1], v[160:161], off offset:4000
	ds_write2_b64 v249, v[138:139], v[180:181] offset0:100 offset1:200
	s_waitcnt vmcnt(0)
	v_mul_f32_e32 v138, v3, v1
	v_mul_f32_e32 v139, v2, v1
	v_fma_f32 v138, v2, v0, -v138
	v_fmac_f32_e32 v139, v3, v0
	v_add_u32_e32 v0, 0xc00, v249
	ds_write2_b64 v0, v[138:139], v[166:167] offset0:116 offset1:216
	global_load_dwordx2 v[0:1], v[162:163], off offset:1728
	s_waitcnt vmcnt(0)
	v_mul_f32_e32 v2, v149, v1
	v_mul_f32_e32 v3, v148, v1
	v_fma_f32 v2, v148, v0, -v2
	v_fmac_f32_e32 v3, v149, v0
	global_load_dwordx2 v[0:1], v[158:159], off offset:32
	ds_write2_b64 v197, v[193:194], v[2:3] offset0:60 offset1:160
	s_waitcnt vmcnt(0)
	v_mul_f32_e32 v2, v171, v1
	v_mul_f32_e32 v3, v170, v1
	v_fma_f32 v2, v170, v0, -v2
	v_fmac_f32_e32 v3, v171, v0
	v_add_u32_e32 v0, 0x2000, v249
	ds_write2_b64 v0, v[2:3], v[164:165] offset0:76 offset1:176
	global_load_dwordx2 v[0:1], v[158:159], off offset:2432
	;; [unrolled: 15-line block ×4, first 2 shown]
	s_waitcnt vmcnt(0)
	v_mul_f32_e32 v2, v137, v1
	v_mul_f32_e32 v3, v136, v1
	v_fma_f32 v2, v136, v0, -v2
	v_fmac_f32_e32 v3, v137, v0
	global_load_dwordx2 v[0:1], v[142:143], off offset:2144
	ds_write2_b64 v201, v[176:177], v[2:3] offset0:68 offset1:168
	s_waitcnt vmcnt(0)
	v_mul_f32_e32 v2, v183, v1
	v_mul_f32_e32 v3, v182, v1
	v_fma_f32 v2, v182, v0, -v2
	v_fmac_f32_e32 v3, v183, v0
	ds_write_b64 v249, v[2:3] offset:23200
	s_waitcnt lgkmcnt(0)
	s_barrier
	ds_read2_b64 v[156:159], v249 offset1:100
	ds_read2_b64 v[136:139], v205 offset0:72 offset1:172
	ds_read2_b64 v[160:163], v203 offset0:88 offset1:188
	;; [unrolled: 1-line block ×14, first 2 shown]
	s_waitcnt lgkmcnt(12)
	v_add_f32_e32 v0, v156, v160
	s_waitcnt lgkmcnt(10)
	v_add_f32_e32 v0, v0, v164
	;; [unrolled: 2-line block ×4, first 2 shown]
	v_add_f32_e32 v0, v164, v168
	v_fma_f32 v175, -0.5, v0, v156
	v_sub_f32_e32 v0, v161, v179
	v_mov_b32_e32 v182, v175
	v_fmac_f32_e32 v182, 0xbf737871, v0
	v_sub_f32_e32 v1, v165, v169
	v_sub_f32_e32 v2, v160, v164
	;; [unrolled: 1-line block ×3, first 2 shown]
	v_fmac_f32_e32 v175, 0x3f737871, v0
	v_fmac_f32_e32 v182, 0xbf167918, v1
	v_add_f32_e32 v2, v2, v3
	v_fmac_f32_e32 v175, 0x3f167918, v1
	v_fmac_f32_e32 v182, 0x3e9e377a, v2
	v_fmac_f32_e32 v175, 0x3e9e377a, v2
	v_add_f32_e32 v2, v160, v178
	v_fma_f32 v2, -0.5, v2, v156
	v_mov_b32_e32 v3, v2
	v_fmac_f32_e32 v3, 0x3f737871, v1
	v_sub_f32_e32 v156, v164, v160
	v_sub_f32_e32 v172, v168, v178
	v_fmac_f32_e32 v2, 0xbf737871, v1
	v_add_f32_e32 v1, v165, v169
	v_fmac_f32_e32 v3, 0xbf167918, v0
	v_add_f32_e32 v156, v156, v172
	v_fmac_f32_e32 v2, 0x3f167918, v0
	v_fma_f32 v1, -0.5, v1, v157
	v_fmac_f32_e32 v3, 0x3e9e377a, v156
	v_fmac_f32_e32 v2, 0x3e9e377a, v156
	v_sub_f32_e32 v156, v160, v178
	v_mov_b32_e32 v160, v1
	v_fmac_f32_e32 v160, 0x3f737871, v156
	v_sub_f32_e32 v164, v164, v168
	v_sub_f32_e32 v168, v161, v165
	v_sub_f32_e32 v172, v179, v169
	v_fmac_f32_e32 v1, 0xbf737871, v156
	v_fmac_f32_e32 v160, 0x3f167918, v164
	v_add_f32_e32 v168, v168, v172
	v_fmac_f32_e32 v1, 0xbf167918, v164
	v_fmac_f32_e32 v160, 0x3e9e377a, v168
	;; [unrolled: 1-line block ×3, first 2 shown]
	v_add_f32_e32 v168, v161, v179
	v_add_f32_e32 v0, v157, v161
	v_fma_f32 v157, -0.5, v168, v157
	v_mov_b32_e32 v168, v157
	v_add_f32_e32 v0, v0, v165
	v_fmac_f32_e32 v168, 0xbf737871, v164
	v_sub_f32_e32 v161, v165, v161
	v_sub_f32_e32 v165, v169, v179
	v_fmac_f32_e32 v157, 0x3f737871, v164
	v_fmac_f32_e32 v168, 0x3f167918, v156
	v_add_f32_e32 v161, v161, v165
	v_fmac_f32_e32 v157, 0xbf167918, v156
	v_fmac_f32_e32 v168, 0x3e9e377a, v161
	;; [unrolled: 1-line block ×3, first 2 shown]
	v_add_f32_e32 v161, v206, v210
	v_fma_f32 v161, -0.5, v161, v138
	s_waitcnt lgkmcnt(5)
	v_sub_f32_e32 v164, v203, v215
	v_mov_b32_e32 v165, v161
	v_add_f32_e32 v0, v0, v169
	v_fmac_f32_e32 v165, 0xbf737871, v164
	v_sub_f32_e32 v169, v207, v211
	v_sub_f32_e32 v172, v202, v206
	;; [unrolled: 1-line block ×3, first 2 shown]
	v_fmac_f32_e32 v161, 0x3f737871, v164
	v_fmac_f32_e32 v165, 0xbf167918, v169
	v_add_f32_e32 v172, v172, v173
	v_fmac_f32_e32 v161, 0x3f167918, v169
	v_fmac_f32_e32 v165, 0x3e9e377a, v172
	;; [unrolled: 1-line block ×3, first 2 shown]
	v_add_f32_e32 v172, v202, v214
	v_add_f32_e32 v156, v138, v202
	v_fma_f32 v138, -0.5, v172, v138
	v_mov_b32_e32 v173, v138
	v_fmac_f32_e32 v173, 0x3f737871, v169
	v_sub_f32_e32 v172, v206, v202
	v_sub_f32_e32 v176, v210, v214
	v_fmac_f32_e32 v138, 0xbf737871, v169
	v_add_f32_e32 v169, v207, v211
	v_fmac_f32_e32 v173, 0xbf167918, v164
	v_add_f32_e32 v172, v172, v176
	v_fmac_f32_e32 v138, 0x3f167918, v164
	v_fma_f32 v169, -0.5, v169, v139
	v_fmac_f32_e32 v173, 0x3e9e377a, v172
	v_fmac_f32_e32 v138, 0x3e9e377a, v172
	v_sub_f32_e32 v172, v202, v214
	v_mov_b32_e32 v177, v169
	v_add_f32_e32 v0, v0, v179
	v_fmac_f32_e32 v177, 0x3f737871, v172
	v_sub_f32_e32 v176, v206, v210
	v_sub_f32_e32 v178, v203, v207
	v_sub_f32_e32 v179, v215, v211
	v_fmac_f32_e32 v169, 0xbf737871, v172
	v_fmac_f32_e32 v177, 0x3f167918, v176
	v_add_f32_e32 v178, v178, v179
	v_fmac_f32_e32 v169, 0xbf167918, v176
	v_fmac_f32_e32 v177, 0x3e9e377a, v178
	;; [unrolled: 1-line block ×3, first 2 shown]
	v_add_f32_e32 v178, v203, v215
	v_add_f32_e32 v164, v139, v203
	v_fma_f32 v139, -0.5, v178, v139
	v_mov_b32_e32 v179, v139
	v_sub_f32_e32 v178, v207, v203
	v_sub_f32_e32 v183, v211, v215
	v_fmac_f32_e32 v139, 0x3f737871, v176
	v_fmac_f32_e32 v179, 0xbf737871, v176
	v_add_f32_e32 v178, v178, v183
	v_fmac_f32_e32 v139, 0xbf167918, v172
	v_fmac_f32_e32 v179, 0x3f167918, v172
	;; [unrolled: 1-line block ×4, first 2 shown]
	v_mul_f32_e32 v185, 0xbf737871, v139
	v_mul_f32_e32 v139, 0xbe9e377a, v139
	;; [unrolled: 1-line block ×3, first 2 shown]
	v_fmac_f32_e32 v185, 0xbe9e377a, v138
	v_mul_f32_e32 v187, 0x3e9e377a, v179
	v_fmac_f32_e32 v139, 0x3f737871, v138
	v_mul_f32_e32 v138, 0xbf4f1bbd, v169
	;; [unrolled: 2-line block ×3, first 2 shown]
	v_mul_f32_e32 v165, 0x3f167918, v165
	v_fmac_f32_e32 v187, 0x3f737871, v173
	v_fmac_f32_e32 v138, 0x3f167918, v161
	v_add_f32_e32 v156, v156, v206
	v_fmac_f32_e32 v184, 0x3e9e377a, v173
	v_fmac_f32_e32 v165, 0x3f4f1bbd, v177
	v_add_f32_e32 v177, v168, v187
	v_add_f32_e32 v173, v1, v138
	v_sub_f32_e32 v191, v168, v187
	v_sub_f32_e32 v187, v1, v138
	v_add_f32_e32 v1, v166, v170
	v_add_f32_e32 v156, v156, v210
	v_fma_f32 v1, -0.5, v1, v158
	v_add_f32_e32 v156, v156, v214
	v_add_f32_e32 v176, v3, v184
	;; [unrolled: 1-line block ×3, first 2 shown]
	v_sub_f32_e32 v190, v3, v184
	v_sub_f32_e32 v184, v2, v185
	;; [unrolled: 1-line block ×3, first 2 shown]
	v_mov_b32_e32 v3, v1
	v_add_f32_e32 v192, v174, v156
	v_add_f32_e32 v179, v157, v139
	v_sub_f32_e32 v174, v174, v156
	v_sub_f32_e32 v185, v157, v139
	v_fmac_f32_e32 v3, 0xbf737871, v2
	v_sub_f32_e32 v138, v167, v171
	v_sub_f32_e32 v139, v162, v166
	;; [unrolled: 1-line block ×3, first 2 shown]
	v_fmac_f32_e32 v1, 0x3f737871, v2
	v_fmac_f32_e32 v3, 0xbf167918, v138
	v_add_f32_e32 v139, v139, v156
	v_fmac_f32_e32 v1, 0x3f167918, v138
	v_add_f32_e32 v164, v164, v207
	v_fmac_f32_e32 v3, 0x3e9e377a, v139
	v_fmac_f32_e32 v1, 0x3e9e377a, v139
	v_add_f32_e32 v139, v162, v180
	v_add_f32_e32 v164, v164, v211
	v_mul_f32_e32 v186, 0xbf167918, v169
	v_fma_f32 v139, -0.5, v139, v158
	v_add_f32_e32 v164, v164, v215
	v_fmac_f32_e32 v186, 0xbf4f1bbd, v161
	v_mov_b32_e32 v156, v139
	v_add_f32_e32 v172, v175, v186
	v_add_f32_e32 v193, v0, v164
	v_sub_f32_e32 v186, v175, v186
	v_sub_f32_e32 v175, v0, v164
	v_add_f32_e32 v0, v158, v162
	v_fmac_f32_e32 v156, 0x3f737871, v138
	v_sub_f32_e32 v157, v166, v162
	v_sub_f32_e32 v158, v170, v180
	v_fmac_f32_e32 v139, 0xbf737871, v138
	v_add_f32_e32 v138, v167, v171
	v_fmac_f32_e32 v156, 0xbf167918, v2
	v_add_f32_e32 v157, v157, v158
	v_fmac_f32_e32 v139, 0x3f167918, v2
	v_fma_f32 v138, -0.5, v138, v159
	v_add_f32_e32 v195, v160, v165
	v_sub_f32_e32 v189, v160, v165
	v_fmac_f32_e32 v156, 0x3e9e377a, v157
	v_fmac_f32_e32 v139, 0x3e9e377a, v157
	v_sub_f32_e32 v157, v162, v180
	v_mov_b32_e32 v165, v138
	v_fmac_f32_e32 v165, 0x3f737871, v157
	v_sub_f32_e32 v158, v166, v170
	v_sub_f32_e32 v160, v163, v167
	;; [unrolled: 1-line block ×3, first 2 shown]
	v_fmac_f32_e32 v138, 0xbf737871, v157
	v_fmac_f32_e32 v165, 0x3f167918, v158
	v_add_f32_e32 v160, v160, v161
	v_fmac_f32_e32 v138, 0xbf167918, v158
	v_fmac_f32_e32 v165, 0x3e9e377a, v160
	;; [unrolled: 1-line block ×3, first 2 shown]
	v_add_f32_e32 v160, v163, v181
	v_add_f32_e32 v2, v159, v163
	v_fmac_f32_e32 v159, -0.5, v160
	v_mov_b32_e32 v202, v159
	v_fmac_f32_e32 v202, 0xbf737871, v158
	v_sub_f32_e32 v160, v167, v163
	v_sub_f32_e32 v161, v171, v181
	v_fmac_f32_e32 v159, 0x3f737871, v158
	s_waitcnt lgkmcnt(1)
	v_add_f32_e32 v158, v148, v152
	v_fmac_f32_e32 v202, 0x3f167918, v157
	v_add_f32_e32 v160, v160, v161
	v_fmac_f32_e32 v159, 0xbf167918, v157
	v_fma_f32 v158, -0.5, v158, v140
	v_fmac_f32_e32 v202, 0x3e9e377a, v160
	v_fmac_f32_e32 v159, 0x3e9e377a, v160
	s_waitcnt lgkmcnt(0)
	v_sub_f32_e32 v160, v145, v197
	v_mov_b32_e32 v161, v158
	v_fmac_f32_e32 v161, 0xbf737871, v160
	v_sub_f32_e32 v162, v149, v153
	v_sub_f32_e32 v163, v144, v148
	;; [unrolled: 1-line block ×3, first 2 shown]
	v_fmac_f32_e32 v158, 0x3f737871, v160
	v_fmac_f32_e32 v161, 0xbf167918, v162
	v_add_f32_e32 v163, v163, v164
	v_fmac_f32_e32 v158, 0x3f167918, v162
	v_fmac_f32_e32 v161, 0x3e9e377a, v163
	;; [unrolled: 1-line block ×3, first 2 shown]
	v_add_f32_e32 v163, v144, v196
	v_add_f32_e32 v157, v140, v144
	v_fma_f32 v140, -0.5, v163, v140
	v_mov_b32_e32 v163, v140
	v_fmac_f32_e32 v163, 0x3f737871, v162
	v_fmac_f32_e32 v140, 0xbf737871, v162
	;; [unrolled: 1-line block ×4, first 2 shown]
	v_add_f32_e32 v160, v141, v145
	v_add_f32_e32 v160, v160, v149
	;; [unrolled: 1-line block ×5, first 2 shown]
	v_sub_f32_e32 v164, v148, v144
	v_sub_f32_e32 v166, v152, v196
	v_add_f32_e32 v167, v160, v197
	v_add_f32_e32 v160, v149, v153
	v_add_f32_e32 v164, v164, v166
	v_fma_f32 v162, -0.5, v160, v141
	v_add_f32_e32 v157, v157, v148
	v_fmac_f32_e32 v163, 0x3e9e377a, v164
	v_fmac_f32_e32 v140, 0x3e9e377a, v164
	v_sub_f32_e32 v144, v144, v196
	v_mov_b32_e32 v164, v162
	v_add_f32_e32 v157, v157, v152
	v_fmac_f32_e32 v164, 0x3f737871, v144
	v_sub_f32_e32 v148, v148, v152
	v_sub_f32_e32 v152, v145, v149
	;; [unrolled: 1-line block ×3, first 2 shown]
	v_fmac_f32_e32 v162, 0xbf737871, v144
	v_fmac_f32_e32 v164, 0x3f167918, v148
	v_add_f32_e32 v152, v152, v160
	v_fmac_f32_e32 v162, 0xbf167918, v148
	v_fmac_f32_e32 v164, 0x3e9e377a, v152
	;; [unrolled: 1-line block ×3, first 2 shown]
	v_add_f32_e32 v152, v145, v197
	v_fma_f32 v141, -0.5, v152, v141
	v_mov_b32_e32 v152, v141
	v_sub_f32_e32 v145, v149, v145
	v_sub_f32_e32 v149, v153, v197
	v_fmac_f32_e32 v141, 0x3f737871, v148
	v_add_f32_e32 v145, v145, v149
	v_fmac_f32_e32 v141, 0xbf167918, v144
	v_fmac_f32_e32 v141, 0x3e9e377a, v145
	;; [unrolled: 1-line block ×3, first 2 shown]
	v_mul_f32_e32 v148, 0xbf737871, v141
	v_mul_f32_e32 v149, 0xbf167918, v162
	;; [unrolled: 1-line block ×3, first 2 shown]
	v_fmac_f32_e32 v152, 0x3f167918, v144
	v_fmac_f32_e32 v148, 0xbe9e377a, v140
	;; [unrolled: 1-line block ×4, first 2 shown]
	v_mul_f32_e32 v140, 0xbf4f1bbd, v162
	v_add_f32_e32 v2, v2, v171
	v_fmac_f32_e32 v152, 0x3e9e377a, v145
	v_mul_f32_e32 v144, 0xbf167918, v164
	v_add_f32_e32 v160, v1, v149
	v_fmac_f32_e32 v140, 0x3f167918, v158
	v_sub_f32_e32 v158, v1, v149
	v_add_f32_e32 v1, v204, v208
	v_add_f32_e32 v0, v0, v170
	v_add_f32_e32 v2, v2, v181
	v_fmac_f32_e32 v144, 0x3f4f1bbd, v161
	v_mul_f32_e32 v145, 0xbf737871, v152
	v_mul_f32_e32 v153, 0x3f167918, v161
	;; [unrolled: 1-line block ×3, first 2 shown]
	v_fma_f32 v1, -0.5, v1, v136
	v_add_f32_e32 v194, v182, v183
	v_sub_f32_e32 v188, v182, v183
	v_add_f32_e32 v0, v0, v180
	v_add_f32_e32 v157, v157, v196
	v_add_f32_e32 v182, v3, v144
	v_fmac_f32_e32 v145, 0x3e9e377a, v163
	v_add_f32_e32 v181, v2, v167
	v_fmac_f32_e32 v153, 0x3f4f1bbd, v164
	v_fmac_f32_e32 v152, 0x3f737871, v163
	v_sub_f32_e32 v164, v3, v144
	v_sub_f32_e32 v163, v2, v167
	;; [unrolled: 1-line block ×3, first 2 shown]
	v_mov_b32_e32 v3, v1
	v_add_f32_e32 v180, v0, v157
	v_add_f32_e32 v168, v156, v145
	;; [unrolled: 1-line block ×5, first 2 shown]
	v_sub_f32_e32 v162, v0, v157
	v_sub_f32_e32 v166, v156, v145
	;; [unrolled: 1-line block ×5, first 2 shown]
	v_fmac_f32_e32 v3, 0xbf737871, v2
	v_sub_f32_e32 v138, v205, v209
	v_sub_f32_e32 v139, v200, v204
	v_sub_f32_e32 v140, v212, v208
	v_fmac_f32_e32 v1, 0x3f737871, v2
	v_fmac_f32_e32 v3, 0xbf167918, v138
	v_add_f32_e32 v139, v139, v140
	v_fmac_f32_e32 v1, 0x3f167918, v138
	v_fmac_f32_e32 v3, 0x3e9e377a, v139
	;; [unrolled: 1-line block ×3, first 2 shown]
	v_add_f32_e32 v139, v200, v212
	v_add_f32_e32 v0, v136, v200
	v_fma_f32 v136, -0.5, v139, v136
	v_mov_b32_e32 v139, v136
	v_fmac_f32_e32 v139, 0x3f737871, v138
	v_fmac_f32_e32 v136, 0xbf737871, v138
	v_add_f32_e32 v138, v205, v209
	v_sub_f32_e32 v140, v204, v200
	v_sub_f32_e32 v141, v208, v212
	v_fma_f32 v196, -0.5, v138, v137
	v_fmac_f32_e32 v139, 0xbf167918, v2
	v_add_f32_e32 v140, v140, v141
	v_fmac_f32_e32 v136, 0x3f167918, v2
	v_sub_f32_e32 v138, v200, v212
	v_mov_b32_e32 v145, v196
	v_fmac_f32_e32 v139, 0x3e9e377a, v140
	v_fmac_f32_e32 v136, 0x3e9e377a, v140
	;; [unrolled: 1-line block ×3, first 2 shown]
	v_sub_f32_e32 v140, v204, v208
	v_sub_f32_e32 v141, v201, v205
	;; [unrolled: 1-line block ×3, first 2 shown]
	v_fmac_f32_e32 v196, 0xbf737871, v138
	v_fmac_f32_e32 v145, 0x3f167918, v140
	v_add_f32_e32 v141, v141, v144
	v_fmac_f32_e32 v196, 0xbf167918, v140
	v_fmac_f32_e32 v145, 0x3e9e377a, v141
	;; [unrolled: 1-line block ×3, first 2 shown]
	v_add_f32_e32 v141, v201, v213
	v_add_f32_e32 v2, v137, v201
	v_fmac_f32_e32 v137, -0.5, v141
	v_mov_b32_e32 v197, v137
	v_fmac_f32_e32 v197, 0xbf737871, v140
	v_sub_f32_e32 v141, v205, v201
	v_sub_f32_e32 v144, v209, v213
	v_fmac_f32_e32 v137, 0x3f737871, v140
	v_fmac_f32_e32 v197, 0x3f167918, v138
	v_add_f32_e32 v141, v141, v144
	v_fmac_f32_e32 v137, 0xbf167918, v138
	v_add_f32_e32 v140, v150, v154
	v_fmac_f32_e32 v197, 0x3e9e377a, v141
	v_fmac_f32_e32 v137, 0x3e9e377a, v141
	v_fma_f32 v141, -0.5, v140, v142
	v_sub_f32_e32 v140, v147, v199
	v_mov_b32_e32 v144, v141
	v_add_f32_e32 v169, v202, v152
	v_sub_f32_e32 v167, v202, v152
	v_fmac_f32_e32 v144, 0xbf737871, v140
	v_sub_f32_e32 v148, v151, v155
	v_sub_f32_e32 v149, v146, v150
	;; [unrolled: 1-line block ×3, first 2 shown]
	v_fmac_f32_e32 v141, 0x3f737871, v140
	v_fmac_f32_e32 v144, 0xbf167918, v148
	v_add_f32_e32 v149, v149, v152
	v_fmac_f32_e32 v141, 0x3f167918, v148
	v_fmac_f32_e32 v144, 0x3e9e377a, v149
	;; [unrolled: 1-line block ×3, first 2 shown]
	v_add_f32_e32 v149, v146, v198
	v_add_f32_e32 v138, v142, v146
	v_fma_f32 v142, -0.5, v149, v142
	v_mov_b32_e32 v149, v142
	v_fmac_f32_e32 v149, 0x3f737871, v148
	v_fmac_f32_e32 v142, 0xbf737871, v148
	;; [unrolled: 1-line block ×4, first 2 shown]
	v_add_f32_e32 v140, v143, v147
	v_add_f32_e32 v140, v140, v151
	;; [unrolled: 1-line block ×6, first 2 shown]
	v_sub_f32_e32 v165, v165, v153
	v_sub_f32_e32 v152, v150, v146
	;; [unrolled: 1-line block ×3, first 2 shown]
	v_fma_f32 v201, -0.5, v140, v143
	v_add_f32_e32 v152, v152, v153
	v_sub_f32_e32 v140, v146, v198
	v_mov_b32_e32 v146, v201
	v_add_f32_e32 v138, v138, v150
	v_fmac_f32_e32 v149, 0x3e9e377a, v152
	v_fmac_f32_e32 v142, 0x3e9e377a, v152
	v_fmac_f32_e32 v146, 0x3f737871, v140
	v_sub_f32_e32 v148, v150, v154
	v_sub_f32_e32 v150, v147, v151
	;; [unrolled: 1-line block ×3, first 2 shown]
	v_fmac_f32_e32 v201, 0xbf737871, v140
	v_fmac_f32_e32 v146, 0x3f167918, v148
	v_add_f32_e32 v150, v150, v152
	v_fmac_f32_e32 v201, 0xbf167918, v148
	v_fmac_f32_e32 v146, 0x3e9e377a, v150
	;; [unrolled: 1-line block ×3, first 2 shown]
	v_add_f32_e32 v150, v147, v199
	v_add_f32_e32 v138, v138, v154
	v_fmac_f32_e32 v143, -0.5, v150
	v_add_f32_e32 v138, v138, v198
	v_mov_b32_e32 v198, v143
	v_sub_f32_e32 v147, v151, v147
	v_sub_f32_e32 v150, v155, v199
	v_fmac_f32_e32 v143, 0x3f737871, v148
	v_add_f32_e32 v0, v0, v204
	v_add_f32_e32 v147, v147, v150
	v_fmac_f32_e32 v143, 0xbf167918, v140
	v_add_f32_e32 v0, v0, v208
	v_fmac_f32_e32 v143, 0x3e9e377a, v147
	v_add_f32_e32 v0, v0, v212
	v_add_f32_e32 v2, v2, v205
	v_mul_f32_e32 v202, 0xbf737871, v143
	v_mul_f32_e32 v205, 0xbe9e377a, v143
	v_add_f32_e32 v152, v0, v138
	v_fmac_f32_e32 v202, 0xbe9e377a, v142
	v_fmac_f32_e32 v205, 0x3f737871, v142
	v_sub_f32_e32 v142, v0, v138
	s_barrier
	buffer_load_dword v0, off, s[24:27], 0 offset:224 ; 4-byte Folded Reload
	s_waitcnt vmcnt(0)
	ds_write_b128 v0, v[192:195]
	ds_write_b128 v0, v[176:179] offset:16
	ds_write_b128 v0, v[172:175] offset:32
	;; [unrolled: 1-line block ×4, first 2 shown]
	buffer_load_dword v0, off, s[24:27], 0 offset:220 ; 4-byte Folded Reload
	s_waitcnt vmcnt(0)
	ds_write_b128 v0, v[180:183]
	ds_write_b128 v0, v[168:171] offset:16
	ds_write_b128 v0, v[160:163] offset:32
	;; [unrolled: 1-line block ×4, first 2 shown]
	buffer_load_dword v0, off, s[24:27], 0 offset:216 ; 4-byte Folded Reload
	v_fmac_f32_e32 v198, 0xbf737871, v148
	v_fmac_f32_e32 v198, 0x3f167918, v140
	v_add_f32_e32 v2, v2, v209
	v_fmac_f32_e32 v198, 0x3e9e377a, v147
	v_mul_f32_e32 v147, 0xbf167918, v146
	v_mul_f32_e32 v204, 0x3f167918, v144
	v_add_f32_e32 v2, v2, v213
	v_fmac_f32_e32 v147, 0x3f4f1bbd, v144
	v_mul_f32_e32 v199, 0xbf737871, v198
	v_mul_f32_e32 v203, 0xbf167918, v201
	v_fmac_f32_e32 v204, 0x3f4f1bbd, v146
	v_mul_f32_e32 v198, 0x3e9e377a, v198
	v_mul_f32_e32 v201, 0xbf4f1bbd, v201
	v_add_f32_e32 v154, v3, v147
	v_fmac_f32_e32 v199, 0x3e9e377a, v149
	v_fmac_f32_e32 v203, 0xbf4f1bbd, v141
	v_add_f32_e32 v153, v2, v200
	v_add_f32_e32 v155, v145, v204
	v_fmac_f32_e32 v198, 0x3f737871, v149
	v_fmac_f32_e32 v201, 0x3f167918, v141
	v_add_f32_e32 v148, v139, v199
	v_add_f32_e32 v150, v136, v202
	;; [unrolled: 1-line block ×6, first 2 shown]
	v_sub_f32_e32 v144, v3, v147
	v_sub_f32_e32 v146, v139, v199
	;; [unrolled: 1-line block ×9, first 2 shown]
	s_waitcnt vmcnt(0)
	ds_write_b128 v0, v[152:155]
	ds_write_b128 v0, v[148:151] offset:16
	ds_write_b128 v0, v[140:143] offset:32
	;; [unrolled: 1-line block ×4, first 2 shown]
	s_waitcnt lgkmcnt(0)
	s_barrier
	ds_read2_b64 v[152:155], v249 offset1:100
	ds_read2_b64 v[0:3], v216 offset0:104 offset1:204
	v_add_u32_e32 v200, 0x3c00, v249
	ds_read2_b64 v[156:159], v200 offset0:80 offset1:180
	v_add_u32_e32 v203, 0x2400, v249
	;; [unrolled: 2-line block ×3, first 2 shown]
	s_waitcnt lgkmcnt(2)
	v_mul_f32_e32 v192, v49, v1
	ds_read2_b64 v[164:167], v194 offset0:152 offset1:252
	v_fmac_f32_e32 v192, v48, v0
	v_mul_f32_e32 v0, v49, v0
	v_fma_f32 v1, v48, v1, -v0
	s_waitcnt lgkmcnt(2)
	v_mul_f32_e32 v0, v51, v156
	v_add_u32_e32 v199, 0x400, v249
	v_add_u32_e32 v196, 0x800, v249
	v_mul_f32_e32 v48, v51, v157
	v_fma_f32 v49, v50, v157, -v0
	v_mul_f32_e32 v0, v53, v2
	ds_read2_b64 v[148:151], v199 offset0:72 offset1:172
	ds_read2_b64 v[144:147], v196 offset0:144 offset1:244
	;; [unrolled: 1-line block ×3, first 2 shown]
	v_add_u32_e32 v198, 0x4800, v249
	v_fmac_f32_e32 v48, v50, v156
	v_mul_f32_e32 v50, v53, v3
	v_fma_f32 v3, v52, v3, -v0
	v_mul_f32_e32 v0, v55, v158
	ds_read2_b64 v[172:175], v198 offset0:96 offset1:196
	v_fmac_f32_e32 v50, v52, v2
	v_mul_f32_e32 v51, v55, v159
	v_fma_f32 v52, v54, v159, -v0
	s_waitcnt lgkmcnt(5)
	v_mul_f32_e32 v0, v57, v160
	v_fmac_f32_e32 v51, v54, v158
	v_mul_f32_e32 v53, v57, v161
	v_fma_f32 v54, v56, v161, -v0
	s_waitcnt lgkmcnt(4)
	v_mul_f32_e32 v0, v59, v164
	v_add_u32_e32 v195, 0x3000, v249
	v_fmac_f32_e32 v53, v56, v160
	v_mul_f32_e32 v55, v59, v165
	v_fma_f32 v56, v58, v165, -v0
	v_mul_f32_e32 v0, v61, v162
	ds_read2_b64 v[176:179], v195 offset0:64 offset1:164
	v_add_u32_e32 v197, 0x5000, v249
	v_fmac_f32_e32 v55, v58, v164
	v_mul_f32_e32 v57, v61, v163
	v_fma_f32 v58, v60, v163, -v0
	v_mul_f32_e32 v0, v63, v166
	ds_read2_b64 v[180:183], v197 offset0:40 offset1:140
	v_fmac_f32_e32 v57, v60, v162
	v_mul_f32_e32 v59, v63, v167
	v_fma_f32 v60, v62, v167, -v0
	s_waitcnt lgkmcnt(3)
	v_mul_f32_e32 v0, v65, v168
	v_fmac_f32_e32 v59, v62, v166
	v_mul_f32_e32 v61, v65, v169
	v_fma_f32 v62, v64, v169, -v0
	s_waitcnt lgkmcnt(2)
	v_mul_f32_e32 v0, v67, v172
	v_add_u32_e32 v202, 0x1000, v249
	v_add_u32_e32 v201, 0x1800, v249
	v_fmac_f32_e32 v61, v64, v168
	v_mul_f32_e32 v63, v67, v173
	v_fma_f32 v64, v66, v173, -v0
	v_mul_f32_e32 v0, v69, v170
	ds_read2_b64 v[140:143], v202 offset0:88 offset1:188
	ds_read2_b64 v[136:139], v201 offset0:32 offset1:132
	;; [unrolled: 1-line block ×3, first 2 shown]
	v_add_u32_e32 v193, 0x5400, v249
	v_fmac_f32_e32 v63, v66, v172
	v_mul_f32_e32 v65, v69, v171
	v_fma_f32 v66, v68, v171, -v0
	v_mul_f32_e32 v0, v71, v174
	ds_read2_b64 v[188:191], v193 offset0:112 offset1:212
	v_fmac_f32_e32 v65, v68, v170
	v_mul_f32_e32 v67, v71, v175
	v_fma_f32 v68, v70, v175, -v0
	s_waitcnt lgkmcnt(5)
	v_mul_f32_e32 v0, v73, v176
	v_fmac_f32_e32 v67, v70, v174
	v_mul_f32_e32 v69, v73, v177
	v_fma_f32 v70, v72, v177, -v0
	s_waitcnt lgkmcnt(4)
	v_mul_f32_e32 v0, v75, v180
	v_fmac_f32_e32 v69, v72, v176
	v_mul_f32_e32 v71, v75, v181
	v_fma_f32 v72, v74, v181, -v0
	v_mul_f32_e32 v0, v77, v178
	v_fmac_f32_e32 v71, v74, v180
	v_mul_f32_e32 v73, v77, v179
	v_fma_f32 v74, v76, v179, -v0
	v_mul_f32_e32 v0, v79, v182
	v_fmac_f32_e32 v73, v76, v178
	v_fma_f32 v76, v78, v183, -v0
	s_waitcnt lgkmcnt(1)
	v_mul_f32_e32 v0, v81, v184
	v_fma_f32 v160, v80, v185, -v0
	s_waitcnt lgkmcnt(0)
	v_mul_f32_e32 v0, v83, v188
	v_fma_f32 v162, v82, v189, -v0
	v_mul_f32_e32 v0, v85, v186
	v_fma_f32 v164, v84, v187, -v0
	v_mul_f32_e32 v0, v87, v190
	v_fma_f32 v166, v86, v191, -v0
	v_add_f32_e32 v0, v152, v192
	v_add_f32_e32 v158, v0, v48
	;; [unrolled: 1-line block ×3, first 2 shown]
	v_fma_f32 v152, -0.5, v0, v152
	v_sub_f32_e32 v2, v1, v49
	v_mov_b32_e32 v0, v152
	v_fmac_f32_e32 v0, 0xbf5db3d7, v2
	v_fmac_f32_e32 v152, 0x3f5db3d7, v2
	v_add_f32_e32 v2, v153, v1
	v_add_f32_e32 v1, v1, v49
	v_fma_f32 v153, -0.5, v1, v153
	v_add_f32_e32 v159, v2, v49
	v_sub_f32_e32 v2, v192, v48
	v_mov_b32_e32 v1, v153
	v_fmac_f32_e32 v1, 0x3f5db3d7, v2
	v_fmac_f32_e32 v153, 0xbf5db3d7, v2
	v_add_f32_e32 v2, v154, v50
	v_add_f32_e32 v156, v2, v51
	;; [unrolled: 1-line block ×3, first 2 shown]
	v_fma_f32 v154, -0.5, v2, v154
	v_sub_f32_e32 v48, v3, v52
	v_mov_b32_e32 v2, v154
	v_fmac_f32_e32 v2, 0xbf5db3d7, v48
	v_fmac_f32_e32 v154, 0x3f5db3d7, v48
	v_add_f32_e32 v48, v155, v3
	v_add_f32_e32 v3, v3, v52
	v_fmac_f32_e32 v155, -0.5, v3
	v_add_f32_e32 v157, v48, v52
	v_sub_f32_e32 v48, v50, v51
	v_mov_b32_e32 v3, v155
	v_mul_f32_e32 v163, v85, v187
	v_fmac_f32_e32 v3, 0x3f5db3d7, v48
	v_fmac_f32_e32 v155, 0xbf5db3d7, v48
	v_add_f32_e32 v48, v148, v53
	v_mul_f32_e32 v161, v83, v189
	v_fmac_f32_e32 v163, v84, v186
	v_add_f32_e32 v84, v48, v55
	v_add_f32_e32 v48, v53, v55
	v_fmac_f32_e32 v161, v82, v188
	v_mul_f32_e32 v165, v87, v191
	v_fma_f32 v82, -0.5, v48, v148
	v_fmac_f32_e32 v165, v86, v190
	v_sub_f32_e32 v48, v54, v56
	v_mov_b32_e32 v86, v82
	v_fmac_f32_e32 v86, 0xbf5db3d7, v48
	v_fmac_f32_e32 v82, 0x3f5db3d7, v48
	v_add_f32_e32 v48, v149, v54
	v_add_f32_e32 v85, v48, v56
	;; [unrolled: 1-line block ×3, first 2 shown]
	v_fma_f32 v83, -0.5, v48, v149
	v_sub_f32_e32 v48, v53, v55
	v_mov_b32_e32 v87, v83
	v_mul_f32_e32 v75, v79, v183
	v_fmac_f32_e32 v87, 0x3f5db3d7, v48
	v_fmac_f32_e32 v83, 0xbf5db3d7, v48
	v_add_f32_e32 v48, v150, v57
	v_fmac_f32_e32 v75, v78, v182
	v_add_f32_e32 v78, v48, v59
	v_add_f32_e32 v48, v57, v59
	v_mul_f32_e32 v77, v81, v185
	v_fma_f32 v150, -0.5, v48, v150
	v_fmac_f32_e32 v77, v80, v184
	v_sub_f32_e32 v48, v58, v60
	v_mov_b32_e32 v80, v150
	v_fmac_f32_e32 v80, 0xbf5db3d7, v48
	v_fmac_f32_e32 v150, 0x3f5db3d7, v48
	v_add_f32_e32 v48, v151, v58
	v_add_f32_e32 v79, v48, v60
	v_add_f32_e32 v48, v58, v60
	v_fmac_f32_e32 v151, -0.5, v48
	v_sub_f32_e32 v48, v57, v59
	v_mov_b32_e32 v81, v151
	v_fmac_f32_e32 v81, 0x3f5db3d7, v48
	v_fmac_f32_e32 v151, 0xbf5db3d7, v48
	v_add_f32_e32 v48, v144, v61
	v_add_f32_e32 v50, v48, v63
	;; [unrolled: 1-line block ×3, first 2 shown]
	v_fma_f32 v48, -0.5, v48, v144
	v_sub_f32_e32 v49, v62, v64
	v_mov_b32_e32 v52, v48
	v_fmac_f32_e32 v52, 0xbf5db3d7, v49
	v_fmac_f32_e32 v48, 0x3f5db3d7, v49
	v_add_f32_e32 v49, v145, v62
	v_add_f32_e32 v51, v49, v64
	;; [unrolled: 1-line block ×3, first 2 shown]
	v_fma_f32 v49, -0.5, v49, v145
	v_sub_f32_e32 v54, v61, v63
	v_mov_b32_e32 v53, v49
	v_add_f32_e32 v55, v65, v67
	v_fmac_f32_e32 v53, 0x3f5db3d7, v54
	v_fmac_f32_e32 v49, 0xbf5db3d7, v54
	v_add_f32_e32 v54, v146, v65
	v_fma_f32 v146, -0.5, v55, v146
	v_sub_f32_e32 v55, v66, v68
	v_mov_b32_e32 v56, v146
	v_add_f32_e32 v57, v66, v68
	v_fmac_f32_e32 v56, 0xbf5db3d7, v55
	v_fmac_f32_e32 v146, 0x3f5db3d7, v55
	v_add_f32_e32 v55, v147, v66
	v_fmac_f32_e32 v147, -0.5, v57
	v_sub_f32_e32 v58, v65, v67
	v_mov_b32_e32 v57, v147
	v_fmac_f32_e32 v57, 0x3f5db3d7, v58
	v_fmac_f32_e32 v147, 0xbf5db3d7, v58
	v_add_f32_e32 v58, v140, v69
	v_add_f32_e32 v60, v58, v71
	;; [unrolled: 1-line block ×3, first 2 shown]
	v_fma_f32 v58, -0.5, v58, v140
	v_sub_f32_e32 v59, v70, v72
	v_mov_b32_e32 v62, v58
	v_fmac_f32_e32 v62, 0xbf5db3d7, v59
	v_fmac_f32_e32 v58, 0x3f5db3d7, v59
	v_add_f32_e32 v59, v141, v70
	v_add_f32_e32 v61, v59, v72
	;; [unrolled: 1-line block ×3, first 2 shown]
	v_fma_f32 v59, -0.5, v59, v141
	v_sub_f32_e32 v64, v69, v71
	v_mov_b32_e32 v63, v59
	v_add_f32_e32 v65, v73, v75
	v_fmac_f32_e32 v63, 0x3f5db3d7, v64
	v_fmac_f32_e32 v59, 0xbf5db3d7, v64
	v_add_f32_e32 v64, v142, v73
	v_fma_f32 v142, -0.5, v65, v142
	v_add_f32_e32 v54, v54, v67
	v_sub_f32_e32 v65, v74, v76
	v_mov_b32_e32 v66, v142
	v_add_f32_e32 v67, v74, v76
	v_fmac_f32_e32 v66, 0xbf5db3d7, v65
	v_fmac_f32_e32 v142, 0x3f5db3d7, v65
	v_add_f32_e32 v65, v143, v74
	v_fmac_f32_e32 v143, -0.5, v67
	v_add_f32_e32 v55, v55, v68
	v_sub_f32_e32 v68, v73, v75
	v_mov_b32_e32 v67, v143
	v_fmac_f32_e32 v67, 0x3f5db3d7, v68
	v_fmac_f32_e32 v143, 0xbf5db3d7, v68
	v_add_f32_e32 v68, v136, v77
	v_add_f32_e32 v70, v68, v161
	;; [unrolled: 1-line block ×3, first 2 shown]
	v_fma_f32 v68, -0.5, v68, v136
	v_sub_f32_e32 v69, v160, v162
	v_mov_b32_e32 v72, v68
	v_fmac_f32_e32 v72, 0xbf5db3d7, v69
	v_fmac_f32_e32 v68, 0x3f5db3d7, v69
	v_add_f32_e32 v69, v137, v160
	v_add_f32_e32 v71, v69, v162
	;; [unrolled: 1-line block ×3, first 2 shown]
	v_fma_f32 v69, -0.5, v69, v137
	v_add_f32_e32 v64, v64, v75
	v_sub_f32_e32 v74, v77, v161
	v_mov_b32_e32 v73, v69
	v_add_f32_e32 v75, v163, v165
	v_fmac_f32_e32 v73, 0x3f5db3d7, v74
	v_fmac_f32_e32 v69, 0xbf5db3d7, v74
	v_add_f32_e32 v74, v138, v163
	v_fma_f32 v138, -0.5, v75, v138
	v_add_f32_e32 v65, v65, v76
	v_sub_f32_e32 v75, v164, v166
	v_mov_b32_e32 v76, v138
	v_add_f32_e32 v77, v164, v166
	v_fmac_f32_e32 v76, 0xbf5db3d7, v75
	v_fmac_f32_e32 v138, 0x3f5db3d7, v75
	v_add_f32_e32 v75, v139, v164
	v_fmac_f32_e32 v139, -0.5, v77
	v_sub_f32_e32 v136, v163, v165
	v_mov_b32_e32 v77, v139
	v_fmac_f32_e32 v77, 0x3f5db3d7, v136
	v_fmac_f32_e32 v139, 0xbf5db3d7, v136
	s_barrier
	buffer_load_dword v136, off, s[24:27], 0 offset:212 ; 4-byte Folded Reload
	s_waitcnt vmcnt(0)
	ds_write2_b64 v136, v[158:159], v[0:1] offset1:10
	ds_write_b64 v136, v[152:153] offset:160
	buffer_load_dword v0, off, s[24:27], 0 offset:208 ; 4-byte Folded Reload
	s_waitcnt vmcnt(0)
	ds_write2_b64 v0, v[156:157], v[2:3] offset1:10
	ds_write_b64 v0, v[154:155] offset:160
	;; [unrolled: 4-line block ×9, first 2 shown]
	buffer_load_dword v0, off, s[24:27], 0 offset:196 ; 4-byte Folded Reload
	v_add_f32_e32 v74, v74, v165
	v_add_f32_e32 v75, v75, v166
	s_waitcnt vmcnt(0)
	ds_write2_b64 v0, v[74:75], v[76:77] offset1:10
	ds_write_b64 v0, v[138:139] offset:160
	s_waitcnt lgkmcnt(0)
	s_barrier
	ds_read2_b64 v[52:55], v249 offset1:100
	ds_read2_b64 v[48:51], v199 offset0:72 offset1:172
	ds_read2_b64 v[0:3], v202 offset0:88 offset1:188
	;; [unrolled: 1-line block ×14, first 2 shown]
	s_waitcnt lgkmcnt(13)
	v_mul_f32_e32 v152, v17, v51
	v_mul_f32_e32 v17, v17, v50
	v_fmac_f32_e32 v152, v16, v50
	v_fma_f32 v50, v16, v51, -v17
	s_waitcnt lgkmcnt(12)
	v_mul_f32_e32 v16, v19, v1
	v_fmac_f32_e32 v16, v18, v0
	v_mul_f32_e32 v0, v19, v0
	v_fma_f32 v17, v18, v1, -v0
	s_waitcnt lgkmcnt(11)
	v_mul_f32_e32 v0, v9, v58
	v_mul_f32_e32 v18, v9, v59
	v_fma_f32 v19, v8, v59, -v0
	s_waitcnt lgkmcnt(10)
	v_mul_f32_e32 v0, v11, v60
	v_fmac_f32_e32 v18, v8, v58
	v_mul_f32_e32 v51, v11, v61
	v_fma_f32 v58, v10, v61, -v0
	s_waitcnt lgkmcnt(9)
	v_mul_f32_e32 v0, v5, v66
	v_fmac_f32_e32 v51, v10, v60
	;; [unrolled: 5-line block ×6, first 2 shown]
	v_fma_f32 v76, v230, v83, -v0
	s_waitcnt lgkmcnt(4)
	v_mul_f32_e32 v0, v29, v84
	v_mul_f32_e32 v75, v231, v83
	v_fma_f32 v10, v28, v85, -v0
	v_mul_f32_e32 v0, v31, v2
	v_fmac_f32_e32 v75, v230, v82
	v_mul_f32_e32 v9, v29, v85
	v_fma_f32 v82, v30, v3, -v0
	s_waitcnt lgkmcnt(3)
	v_mul_f32_e32 v0, v25, v136
	v_fmac_f32_e32 v9, v28, v84
	v_fma_f32 v84, v24, v137, -v0
	v_mul_f32_e32 v85, v27, v63
	v_mul_f32_e32 v0, v27, v62
	;; [unrolled: 1-line block ×3, first 2 shown]
	v_fmac_f32_e32 v85, v26, v62
	v_fma_f32 v62, v26, v63, -v0
	s_waitcnt lgkmcnt(2)
	v_mul_f32_e32 v0, v21, v140
	v_fmac_f32_e32 v83, v24, v136
	v_fma_f32 v136, v20, v141, -v0
	v_mul_f32_e32 v137, v23, v71
	v_mul_f32_e32 v0, v23, v70
	v_fmac_f32_e32 v137, v22, v70
	v_fma_f32 v70, v22, v71, -v0
	s_waitcnt lgkmcnt(1)
	v_mul_f32_e32 v71, v13, v145
	v_mul_f32_e32 v0, v13, v144
	v_add_f32_e32 v13, v52, v16
	v_add_f32_e32 v13, v13, v51
	;; [unrolled: 1-line block ×5, first 2 shown]
	v_mul_f32_e32 v63, v21, v141
	v_fma_f32 v24, -0.5, v13, v52
	v_fmac_f32_e32 v63, v20, v140
	v_fma_f32 v140, v12, v145, -v0
	v_mul_f32_e32 v141, v15, v79
	v_mul_f32_e32 v0, v15, v78
	v_sub_f32_e32 v13, v17, v74
	v_mov_b32_e32 v25, v24
	v_fmac_f32_e32 v141, v14, v78
	v_fma_f32 v78, v14, v79, -v0
	v_fmac_f32_e32 v25, 0xbf737871, v13
	v_sub_f32_e32 v14, v58, v66
	v_sub_f32_e32 v15, v16, v51
	;; [unrolled: 1-line block ×3, first 2 shown]
	v_fmac_f32_e32 v24, 0x3f737871, v13
	v_fmac_f32_e32 v25, 0xbf167918, v14
	v_add_f32_e32 v15, v15, v20
	v_fmac_f32_e32 v24, 0x3f167918, v14
	v_fmac_f32_e32 v25, 0x3e9e377a, v15
	;; [unrolled: 1-line block ×3, first 2 shown]
	v_add_f32_e32 v15, v16, v69
	v_fma_f32 v26, -0.5, v15, v52
	v_mov_b32_e32 v27, v26
	v_fmac_f32_e32 v27, 0x3f737871, v14
	v_fmac_f32_e32 v26, 0xbf737871, v14
	s_waitcnt lgkmcnt(0)
	v_mul_f32_e32 v0, v226, v148
	v_fmac_f32_e32 v27, 0xbf167918, v13
	v_fmac_f32_e32 v26, 0x3f167918, v13
	v_add_f32_e32 v13, v53, v17
	v_mul_f32_e32 v77, v31, v3
	v_fmac_f32_e32 v71, v12, v144
	v_fma_f32 v144, v225, v149, -v0
	v_mul_f32_e32 v0, v45, v87
	v_add_f32_e32 v13, v13, v58
	v_fmac_f32_e32 v77, v30, v2
	v_fmac_f32_e32 v0, v44, v86
	v_mul_f32_e32 v1, v45, v86
	v_mul_f32_e32 v86, v47, v57
	;; [unrolled: 1-line block ×5, first 2 shown]
	v_add_f32_e32 v13, v13, v66
	v_fmac_f32_e32 v47, v42, v64
	v_mul_f32_e32 v3, v43, v64
	v_fma_f32 v64, v38, v73, -v4
	v_mul_f32_e32 v8, v33, v147
	v_mul_f32_e32 v4, v33, v146
	v_add_f32_e32 v28, v13, v74
	v_add_f32_e32 v13, v58, v66
	v_fmac_f32_e32 v8, v32, v146
	v_fma_f32 v4, v32, v147, -v4
	v_sub_f32_e32 v15, v51, v16
	v_sub_f32_e32 v20, v61, v69
	v_fma_f32 v32, -0.5, v13, v53
	v_add_f32_e32 v15, v15, v20
	v_sub_f32_e32 v13, v16, v69
	v_mov_b32_e32 v30, v32
	v_fmac_f32_e32 v27, 0x3e9e377a, v15
	v_fmac_f32_e32 v26, 0x3e9e377a, v15
	;; [unrolled: 1-line block ×3, first 2 shown]
	v_sub_f32_e32 v14, v51, v61
	v_sub_f32_e32 v15, v17, v58
	;; [unrolled: 1-line block ×3, first 2 shown]
	v_fmac_f32_e32 v32, 0xbf737871, v13
	v_fmac_f32_e32 v30, 0x3f167918, v14
	v_add_f32_e32 v15, v15, v16
	v_fmac_f32_e32 v32, 0xbf167918, v14
	v_fmac_f32_e32 v30, 0x3e9e377a, v15
	;; [unrolled: 1-line block ×3, first 2 shown]
	v_add_f32_e32 v15, v17, v74
	v_fmac_f32_e32 v86, v46, v56
	v_fma_f32 v12, v46, v57, -v2
	v_fma_f32 v56, v42, v65, -v3
	v_mul_f32_e32 v57, v39, v73
	v_mul_f32_e32 v65, v35, v81
	;; [unrolled: 1-line block ×3, first 2 shown]
	v_fma_f32 v33, -0.5, v15, v53
	v_fmac_f32_e32 v57, v38, v72
	v_fmac_f32_e32 v65, v34, v80
	v_fma_f32 v72, v34, v81, -v7
	v_mov_b32_e32 v34, v33
	v_fmac_f32_e32 v34, 0xbf737871, v14
	v_fmac_f32_e32 v33, 0x3f737871, v14
	;; [unrolled: 1-line block ×4, first 2 shown]
	v_add_f32_e32 v13, v152, v18
	v_add_f32_e32 v13, v13, v59
	;; [unrolled: 1-line block ×5, first 2 shown]
	v_sub_f32_e32 v15, v58, v17
	v_sub_f32_e32 v16, v66, v74
	v_fma_f32 v22, -0.5, v13, v152
	v_add_f32_e32 v15, v15, v16
	v_sub_f32_e32 v13, v19, v76
	v_mov_b32_e32 v16, v22
	v_fmac_f32_e32 v34, 0x3e9e377a, v15
	v_fmac_f32_e32 v33, 0x3e9e377a, v15
	;; [unrolled: 1-line block ×3, first 2 shown]
	v_sub_f32_e32 v14, v60, v68
	v_sub_f32_e32 v15, v18, v59
	v_sub_f32_e32 v17, v75, v67
	v_fmac_f32_e32 v22, 0x3f737871, v13
	v_fmac_f32_e32 v16, 0xbf167918, v14
	v_add_f32_e32 v15, v15, v17
	v_fmac_f32_e32 v22, 0x3f167918, v14
	v_fmac_f32_e32 v16, 0x3e9e377a, v15
	;; [unrolled: 1-line block ×3, first 2 shown]
	v_add_f32_e32 v15, v18, v75
	v_fmac_f32_e32 v152, -0.5, v15
	v_mov_b32_e32 v20, v152
	v_fmac_f32_e32 v20, 0x3f737871, v14
	v_fmac_f32_e32 v152, 0xbf737871, v14
	;; [unrolled: 1-line block ×4, first 2 shown]
	v_add_f32_e32 v13, v50, v19
	v_add_f32_e32 v13, v13, v60
	;; [unrolled: 1-line block ×5, first 2 shown]
	v_sub_f32_e32 v15, v59, v18
	v_sub_f32_e32 v17, v67, v75
	v_fma_f32 v31, -0.5, v13, v50
	v_add_f32_e32 v15, v15, v17
	v_sub_f32_e32 v13, v18, v75
	v_mov_b32_e32 v18, v31
	v_fmac_f32_e32 v20, 0x3e9e377a, v15
	v_fmac_f32_e32 v152, 0x3e9e377a, v15
	;; [unrolled: 1-line block ×3, first 2 shown]
	v_sub_f32_e32 v14, v59, v67
	v_sub_f32_e32 v15, v19, v60
	;; [unrolled: 1-line block ×3, first 2 shown]
	v_fmac_f32_e32 v31, 0xbf737871, v13
	v_fmac_f32_e32 v18, 0x3f167918, v14
	v_add_f32_e32 v15, v15, v17
	v_fmac_f32_e32 v31, 0xbf167918, v14
	v_fmac_f32_e32 v18, 0x3e9e377a, v15
	;; [unrolled: 1-line block ×3, first 2 shown]
	v_add_f32_e32 v15, v19, v76
	v_mul_f32_e32 v6, v37, v143
	v_mul_f32_e32 v3, v37, v142
	v_fmac_f32_e32 v50, -0.5, v15
	v_fmac_f32_e32 v6, v36, v142
	v_fma_f32 v3, v36, v143, -v3
	v_mov_b32_e32 v36, v50
	v_sub_f32_e32 v15, v60, v19
	v_sub_f32_e32 v17, v68, v76
	v_fmac_f32_e32 v50, 0x3f737871, v14
	v_fmac_f32_e32 v36, 0xbf737871, v14
	v_add_f32_e32 v15, v15, v17
	v_fmac_f32_e32 v50, 0xbf167918, v13
	v_fmac_f32_e32 v36, 0x3f167918, v13
	;; [unrolled: 1-line block ×3, first 2 shown]
	v_mul_f32_e32 v5, v41, v139
	v_mul_f32_e32 v2, v41, v138
	v_fmac_f32_e32 v36, 0x3e9e377a, v15
	v_mul_f32_e32 v39, 0xbf737871, v50
	v_mul_f32_e32 v41, 0x3f4f1bbd, v18
	;; [unrolled: 1-line block ×5, first 2 shown]
	v_fmac_f32_e32 v39, 0xbe9e377a, v152
	v_fmac_f32_e32 v41, 0x3f167918, v16
	v_mul_f32_e32 v36, 0x3e9e377a, v36
	v_fmac_f32_e32 v42, 0x3f737871, v152
	v_add_f32_e32 v13, v23, v29
	v_fmac_f32_e32 v37, 0x3f4f1bbd, v16
	v_fmac_f32_e32 v38, 0x3e9e377a, v20
	v_add_f32_e32 v19, v26, v39
	v_add_f32_e32 v16, v30, v41
	v_fmac_f32_e32 v36, 0x3f737871, v20
	v_add_f32_e32 v20, v33, v42
	v_sub_f32_e32 v23, v23, v29
	v_sub_f32_e32 v29, v26, v39
	v_sub_f32_e32 v26, v30, v41
	v_sub_f32_e32 v30, v33, v42
	v_add_f32_e32 v33, v54, v77
	v_mul_f32_e32 v43, 0xbf4f1bbd, v31
	v_add_f32_e32 v33, v33, v85
	v_fmac_f32_e32 v5, v40, v138
	v_fma_f32 v2, v40, v139, -v2
	v_mul_f32_e32 v40, 0xbf167918, v31
	v_fmac_f32_e32 v43, 0x3f167918, v22
	v_add_f32_e32 v33, v33, v137
	v_fmac_f32_e32 v40, 0xbf4f1bbd, v22
	v_add_f32_e32 v22, v32, v43
	v_sub_f32_e32 v32, v32, v43
	v_add_f32_e32 v43, v33, v141
	v_add_f32_e32 v33, v85, v137
	v_fma_f32 v1, v44, v87, -v1
	v_fma_f32 v44, -0.5, v33, v54
	v_sub_f32_e32 v33, v82, v78
	v_mov_b32_e32 v45, v44
	v_add_f32_e32 v21, v24, v40
	v_add_f32_e32 v14, v28, v35
	;; [unrolled: 1-line block ×3, first 2 shown]
	v_sub_f32_e32 v31, v24, v40
	v_sub_f32_e32 v24, v28, v35
	;; [unrolled: 1-line block ×3, first 2 shown]
	v_fmac_f32_e32 v45, 0xbf737871, v33
	v_sub_f32_e32 v34, v62, v70
	v_sub_f32_e32 v35, v77, v85
	v_sub_f32_e32 v36, v141, v137
	v_fmac_f32_e32 v44, 0x3f737871, v33
	v_fmac_f32_e32 v45, 0xbf167918, v34
	v_add_f32_e32 v35, v35, v36
	v_fmac_f32_e32 v44, 0x3f167918, v34
	v_fmac_f32_e32 v45, 0x3e9e377a, v35
	;; [unrolled: 1-line block ×3, first 2 shown]
	v_add_f32_e32 v35, v77, v141
	v_fma_f32 v46, -0.5, v35, v54
	v_mov_b32_e32 v50, v46
	v_fmac_f32_e32 v50, 0x3f737871, v34
	v_fmac_f32_e32 v46, 0xbf737871, v34
	;; [unrolled: 1-line block ×4, first 2 shown]
	v_add_f32_e32 v33, v55, v82
	v_add_f32_e32 v33, v33, v62
	;; [unrolled: 1-line block ×5, first 2 shown]
	v_sub_f32_e32 v35, v85, v77
	v_sub_f32_e32 v36, v137, v141
	v_fma_f32 v53, -0.5, v33, v55
	v_add_f32_e32 v35, v35, v36
	v_sub_f32_e32 v33, v77, v141
	v_mov_b32_e32 v54, v53
	v_fmac_f32_e32 v50, 0x3e9e377a, v35
	v_fmac_f32_e32 v46, 0x3e9e377a, v35
	;; [unrolled: 1-line block ×3, first 2 shown]
	v_sub_f32_e32 v34, v85, v137
	v_sub_f32_e32 v35, v82, v62
	v_sub_f32_e32 v36, v78, v70
	v_fmac_f32_e32 v53, 0xbf737871, v33
	v_fmac_f32_e32 v54, 0x3f167918, v34
	v_add_f32_e32 v35, v35, v36
	v_fmac_f32_e32 v53, 0xbf167918, v34
	v_fmac_f32_e32 v54, 0x3e9e377a, v35
	;; [unrolled: 1-line block ×3, first 2 shown]
	v_add_f32_e32 v35, v82, v78
	v_fmac_f32_e32 v55, -0.5, v35
	v_mov_b32_e32 v58, v55
	v_fmac_f32_e32 v58, 0xbf737871, v34
	v_fmac_f32_e32 v55, 0x3f737871, v34
	;; [unrolled: 1-line block ×4, first 2 shown]
	v_add_f32_e32 v33, v9, v83
	v_mul_f32_e32 v79, v226, v149
	v_add_f32_e32 v33, v33, v63
	v_fmac_f32_e32 v79, v225, v148
	v_add_f32_e32 v33, v33, v71
	v_add_f32_e32 v52, v33, v79
	;; [unrolled: 1-line block ×3, first 2 shown]
	v_sub_f32_e32 v35, v62, v82
	v_sub_f32_e32 v36, v70, v78
	v_fma_f32 v42, -0.5, v33, v9
	v_add_f32_e32 v35, v35, v36
	v_sub_f32_e32 v33, v84, v144
	v_mov_b32_e32 v36, v42
	v_add_f32_e32 v15, v25, v37
	v_sub_f32_e32 v25, v25, v37
	v_fmac_f32_e32 v58, 0x3e9e377a, v35
	v_fmac_f32_e32 v55, 0x3e9e377a, v35
	;; [unrolled: 1-line block ×3, first 2 shown]
	v_sub_f32_e32 v34, v136, v140
	v_sub_f32_e32 v35, v83, v63
	;; [unrolled: 1-line block ×3, first 2 shown]
	v_fmac_f32_e32 v42, 0x3f737871, v33
	v_fmac_f32_e32 v36, 0xbf167918, v34
	v_add_f32_e32 v35, v35, v37
	v_fmac_f32_e32 v42, 0x3f167918, v34
	v_fmac_f32_e32 v36, 0x3e9e377a, v35
	;; [unrolled: 1-line block ×3, first 2 shown]
	v_add_f32_e32 v35, v83, v79
	v_fmac_f32_e32 v9, -0.5, v35
	v_add_f32_e32 v17, v27, v38
	v_sub_f32_e32 v27, v27, v38
	v_mov_b32_e32 v38, v9
	v_fmac_f32_e32 v38, 0x3f737871, v34
	v_fmac_f32_e32 v9, 0xbf737871, v34
	;; [unrolled: 1-line block ×4, first 2 shown]
	v_add_f32_e32 v33, v10, v84
	v_add_f32_e32 v33, v33, v136
	;; [unrolled: 1-line block ×5, first 2 shown]
	v_sub_f32_e32 v35, v63, v83
	v_sub_f32_e32 v37, v71, v79
	v_fma_f32 v60, -0.5, v33, v10
	v_add_f32_e32 v35, v35, v37
	v_sub_f32_e32 v33, v83, v79
	v_mov_b32_e32 v40, v60
	v_fmac_f32_e32 v38, 0x3e9e377a, v35
	v_fmac_f32_e32 v9, 0x3e9e377a, v35
	;; [unrolled: 1-line block ×3, first 2 shown]
	v_sub_f32_e32 v34, v63, v71
	v_sub_f32_e32 v35, v84, v136
	;; [unrolled: 1-line block ×3, first 2 shown]
	v_fmac_f32_e32 v60, 0xbf737871, v33
	v_fmac_f32_e32 v40, 0x3f167918, v34
	v_add_f32_e32 v35, v35, v37
	v_fmac_f32_e32 v60, 0xbf167918, v34
	v_fmac_f32_e32 v40, 0x3e9e377a, v35
	;; [unrolled: 1-line block ×3, first 2 shown]
	v_add_f32_e32 v35, v84, v144
	v_fmac_f32_e32 v10, -0.5, v35
	v_mov_b32_e32 v61, v10
	v_sub_f32_e32 v35, v136, v84
	v_sub_f32_e32 v37, v140, v144
	v_fmac_f32_e32 v10, 0x3f737871, v34
	v_add_f32_e32 v35, v35, v37
	v_fmac_f32_e32 v10, 0xbf167918, v33
	v_fmac_f32_e32 v61, 0xbf737871, v34
	;; [unrolled: 1-line block ×4, first 2 shown]
	v_mul_f32_e32 v69, 0xbe9e377a, v10
	v_fmac_f32_e32 v61, 0x3e9e377a, v35
	v_fmac_f32_e32 v69, 0x3f737871, v9
	v_mul_f32_e32 v62, 0xbf167918, v40
	v_mul_f32_e32 v63, 0xbf737871, v61
	;; [unrolled: 1-line block ×3, first 2 shown]
	v_add_f32_e32 v34, v51, v59
	v_mul_f32_e32 v68, 0x3f4f1bbd, v40
	v_mul_f32_e32 v61, 0x3e9e377a, v61
	v_add_f32_e32 v40, v55, v69
	v_sub_f32_e32 v10, v51, v59
	v_sub_f32_e32 v51, v55, v69
	v_add_f32_e32 v55, v47, v57
	v_fmac_f32_e32 v62, 0x3f4f1bbd, v36
	v_fmac_f32_e32 v63, 0x3e9e377a, v38
	v_fmac_f32_e32 v66, 0xbe9e377a, v9
	v_mul_f32_e32 v67, 0xbf167918, v60
	v_fmac_f32_e32 v61, 0x3f737871, v38
	v_mul_f32_e32 v60, 0xbf4f1bbd, v60
	v_fma_f32 v55, -0.5, v55, v48
	v_add_f32_e32 v33, v43, v52
	v_add_f32_e32 v35, v45, v62
	;; [unrolled: 1-line block ×5, first 2 shown]
	v_fmac_f32_e32 v60, 0x3f167918, v42
	v_sub_f32_e32 v9, v43, v52
	v_sub_f32_e32 v43, v45, v62
	;; [unrolled: 1-line block ×6, first 2 shown]
	v_mov_b32_e32 v59, v55
	v_fmac_f32_e32 v67, 0xbf4f1bbd, v42
	v_add_f32_e32 v42, v53, v60
	v_sub_f32_e32 v53, v53, v60
	v_fmac_f32_e32 v59, 0xbf737871, v58
	v_sub_f32_e32 v60, v56, v64
	v_sub_f32_e32 v61, v86, v47
	;; [unrolled: 1-line block ×3, first 2 shown]
	v_fmac_f32_e32 v55, 0x3f737871, v58
	v_fmac_f32_e32 v59, 0xbf167918, v60
	v_add_f32_e32 v61, v61, v62
	v_fmac_f32_e32 v55, 0x3f167918, v60
	v_fmac_f32_e32 v59, 0x3e9e377a, v61
	;; [unrolled: 1-line block ×3, first 2 shown]
	v_add_f32_e32 v61, v86, v65
	v_fma_f32 v61, -0.5, v61, v48
	v_fmac_f32_e32 v68, 0x3f167918, v36
	v_mov_b32_e32 v62, v61
	v_add_f32_e32 v41, v44, v67
	v_add_f32_e32 v36, v54, v68
	v_sub_f32_e32 v52, v44, v67
	v_sub_f32_e32 v44, v54, v68
	v_add_f32_e32 v54, v48, v86
	v_fmac_f32_e32 v62, 0x3f737871, v60
	v_sub_f32_e32 v48, v47, v86
	v_sub_f32_e32 v63, v57, v65
	v_fmac_f32_e32 v61, 0xbf737871, v60
	v_fmac_f32_e32 v62, 0xbf167918, v58
	v_add_f32_e32 v48, v48, v63
	v_fmac_f32_e32 v61, 0x3f167918, v58
	v_fmac_f32_e32 v62, 0x3e9e377a, v48
	;; [unrolled: 1-line block ×3, first 2 shown]
	v_add_f32_e32 v48, v49, v12
	v_add_f32_e32 v48, v48, v56
	;; [unrolled: 1-line block ×7, first 2 shown]
	v_fma_f32 v66, -0.5, v48, v49
	v_add_f32_e32 v54, v54, v65
	v_sub_f32_e32 v48, v86, v65
	v_mov_b32_e32 v65, v66
	v_fmac_f32_e32 v65, 0x3f737871, v48
	v_sub_f32_e32 v47, v47, v57
	v_sub_f32_e32 v57, v12, v56
	;; [unrolled: 1-line block ×3, first 2 shown]
	v_fmac_f32_e32 v66, 0xbf737871, v48
	v_fmac_f32_e32 v65, 0x3f167918, v47
	v_add_f32_e32 v57, v57, v58
	v_fmac_f32_e32 v66, 0xbf167918, v47
	v_fmac_f32_e32 v65, 0x3e9e377a, v57
	v_fmac_f32_e32 v66, 0x3e9e377a, v57
	v_add_f32_e32 v57, v12, v72
	v_fmac_f32_e32 v49, -0.5, v57
	v_mov_b32_e32 v57, v49
	v_fmac_f32_e32 v57, 0xbf737871, v47
	v_sub_f32_e32 v12, v56, v12
	v_sub_f32_e32 v56, v64, v72
	v_fmac_f32_e32 v49, 0x3f737871, v47
	v_fmac_f32_e32 v57, 0x3f167918, v48
	v_add_f32_e32 v12, v12, v56
	v_fmac_f32_e32 v49, 0xbf167918, v48
	v_fmac_f32_e32 v57, 0x3e9e377a, v12
	;; [unrolled: 1-line block ×3, first 2 shown]
	v_add_f32_e32 v12, v0, v5
	v_mul_f32_e32 v11, v224, v151
	v_add_f32_e32 v12, v12, v6
	v_fmac_f32_e32 v11, v223, v150
	v_add_f32_e32 v12, v12, v8
	v_mul_f32_e32 v7, v224, v150
	v_add_f32_e32 v56, v12, v11
	v_add_f32_e32 v12, v6, v8
	v_fma_f32 v7, v223, v151, -v7
	v_fma_f32 v48, -0.5, v12, v0
	v_sub_f32_e32 v12, v2, v7
	v_mov_b32_e32 v58, v48
	v_fmac_f32_e32 v58, 0xbf737871, v12
	v_sub_f32_e32 v47, v3, v4
	v_sub_f32_e32 v60, v5, v6
	v_sub_f32_e32 v64, v11, v8
	v_fmac_f32_e32 v48, 0x3f737871, v12
	v_fmac_f32_e32 v58, 0xbf167918, v47
	v_add_f32_e32 v60, v60, v64
	v_fmac_f32_e32 v48, 0x3f167918, v47
	v_fmac_f32_e32 v58, 0x3e9e377a, v60
	;; [unrolled: 1-line block ×3, first 2 shown]
	v_add_f32_e32 v60, v5, v11
	v_fmac_f32_e32 v0, -0.5, v60
	v_mov_b32_e32 v60, v0
	v_fmac_f32_e32 v60, 0x3f737871, v47
	v_fmac_f32_e32 v0, 0xbf737871, v47
	;; [unrolled: 1-line block ×4, first 2 shown]
	v_add_f32_e32 v12, v1, v2
	v_sub_f32_e32 v64, v6, v5
	v_sub_f32_e32 v67, v8, v11
	v_add_f32_e32 v12, v12, v3
	v_add_f32_e32 v64, v64, v67
	v_add_f32_e32 v12, v12, v4
	v_fmac_f32_e32 v60, 0x3e9e377a, v64
	v_fmac_f32_e32 v0, 0x3e9e377a, v64
	v_add_f32_e32 v64, v12, v7
	v_add_f32_e32 v12, v3, v4
	v_fma_f32 v67, -0.5, v12, v1
	v_sub_f32_e32 v5, v5, v11
	v_mov_b32_e32 v12, v67
	v_fmac_f32_e32 v12, 0x3f737871, v5
	v_sub_f32_e32 v6, v6, v8
	v_sub_f32_e32 v8, v2, v3
	;; [unrolled: 1-line block ×3, first 2 shown]
	v_fmac_f32_e32 v67, 0xbf737871, v5
	v_fmac_f32_e32 v12, 0x3f167918, v6
	v_add_f32_e32 v8, v8, v11
	v_fmac_f32_e32 v67, 0xbf167918, v6
	v_fmac_f32_e32 v12, 0x3e9e377a, v8
	;; [unrolled: 1-line block ×3, first 2 shown]
	v_add_f32_e32 v8, v2, v7
	v_fmac_f32_e32 v1, -0.5, v8
	v_mov_b32_e32 v8, v1
	v_fmac_f32_e32 v8, 0xbf737871, v6
	v_sub_f32_e32 v2, v3, v2
	v_sub_f32_e32 v3, v4, v7
	v_fmac_f32_e32 v8, 0x3f167918, v5
	v_add_f32_e32 v2, v2, v3
	v_fmac_f32_e32 v8, 0x3e9e377a, v2
	v_mul_f32_e32 v69, 0xbf737871, v8
	v_mul_f32_e32 v8, 0x3e9e377a, v8
	v_fmac_f32_e32 v8, 0x3f737871, v60
	v_add_f32_e32 v7, v57, v8
	v_sub_f32_e32 v57, v57, v8
	s_barrier
	buffer_load_dword v8, off, s[24:27], 0 offset:240 ; 4-byte Folded Reload
	s_waitcnt vmcnt(0)
	ds_write2_b64 v8, v[13:14], v[15:16] offset1:30
	ds_write2_b64 v8, v[17:18], v[19:20] offset0:60 offset1:90
	ds_write2_b64 v8, v[21:22], v[23:24] offset0:120 offset1:150
	;; [unrolled: 1-line block ×3, first 2 shown]
	buffer_load_dword v8, off, s[24:27], 0 offset:228 ; 4-byte Folded Reload
	v_fmac_f32_e32 v1, 0x3f737871, v6
	v_fmac_f32_e32 v1, 0xbf167918, v5
	;; [unrolled: 1-line block ×3, first 2 shown]
	v_mul_f32_e32 v68, 0xbf167918, v12
	v_mul_f32_e32 v70, 0xbf737871, v1
	;; [unrolled: 1-line block ×6, first 2 shown]
	v_fmac_f32_e32 v68, 0x3f4f1bbd, v58
	v_fmac_f32_e32 v69, 0x3e9e377a, v60
	;; [unrolled: 1-line block ×7, first 2 shown]
	v_add_f32_e32 v2, v54, v56
	v_add_f32_e32 v4, v59, v68
	;; [unrolled: 1-line block ×9, first 2 shown]
	v_sub_f32_e32 v0, v54, v56
	v_sub_f32_e32 v54, v59, v68
	;; [unrolled: 1-line block ×9, first 2 shown]
	s_waitcnt vmcnt(0)
	ds_write2_b64 v8, v[29:30], v[31:32] offset0:112 offset1:142
	buffer_load_dword v8, off, s[24:27], 0 offset:244 ; 4-byte Folded Reload
	s_waitcnt vmcnt(0)
	ds_write2_b64 v8, v[33:34], v[35:36] offset1:30
	ds_write2_b64 v8, v[37:38], v[39:40] offset0:60 offset1:90
	ds_write2_b64 v8, v[41:42], v[9:10] offset0:120 offset1:150
	;; [unrolled: 1-line block ×3, first 2 shown]
	buffer_load_dword v8, off, s[24:27], 0 offset:232 ; 4-byte Folded Reload
	s_waitcnt vmcnt(0)
	ds_write2_b64 v8, v[50:51], v[52:53] offset0:112 offset1:142
	ds_write2_b64 v248, v[2:3], v[4:5] offset1:30
	ds_write2_b64 v248, v[6:7], v[11:12] offset0:60 offset1:90
	ds_write2_b64 v248, v[47:48], v[0:1] offset0:120 offset1:150
	;; [unrolled: 1-line block ×3, first 2 shown]
	buffer_load_dword v0, off, s[24:27], 0 offset:236 ; 4-byte Folded Reload
	s_waitcnt vmcnt(0)
	ds_write2_b64 v0, v[58:59], v[60:61] offset0:112 offset1:142
	s_waitcnt lgkmcnt(0)
	s_barrier
	ds_read2_b64 v[4:7], v249 offset1:100
	ds_read2_b64 v[0:3], v199 offset0:72 offset1:172
	ds_read2_b64 v[8:11], v202 offset0:88 offset1:188
	;; [unrolled: 1-line block ×14, first 2 shown]
	s_waitcnt lgkmcnt(13)
	v_mul_f32_e32 v60, v101, v3
	v_fmac_f32_e32 v60, v100, v2
	v_mul_f32_e32 v2, v101, v2
	v_fma_f32 v61, v100, v3, -v2
	s_waitcnt lgkmcnt(12)
	v_mul_f32_e32 v2, v103, v8
	v_fma_f32 v63, v102, v9, -v2
	s_waitcnt lgkmcnt(11)
	;; [unrolled: 3-line block ×3, first 2 shown]
	v_mul_f32_e32 v2, v99, v16
	v_mul_f32_e32 v66, v99, v17
	v_fma_f32 v17, v98, v17, -v2
	s_waitcnt lgkmcnt(9)
	v_mul_f32_e32 v67, v93, v23
	v_mul_f32_e32 v2, v93, v22
	v_fmac_f32_e32 v67, v92, v22
	v_fma_f32 v22, v92, v23, -v2
	s_waitcnt lgkmcnt(8)
	v_mul_f32_e32 v23, v95, v25
	v_mul_f32_e32 v2, v95, v24
	v_fmac_f32_e32 v23, v94, v24
	;; [unrolled: 5-line block ×5, first 2 shown]
	v_fma_f32 v38, v228, v39, -v2
	s_waitcnt lgkmcnt(4)
	v_mul_f32_e32 v2, v117, v40
	v_mul_f32_e32 v68, v117, v41
	v_fma_f32 v69, v116, v41, -v2
	v_mul_f32_e32 v2, v119, v10
	v_mul_f32_e32 v62, v103, v9
	v_fmac_f32_e32 v68, v116, v40
	v_fma_f32 v40, v118, v11, -v2
	s_waitcnt lgkmcnt(3)
	v_mul_f32_e32 v41, v113, v45
	v_mul_f32_e32 v2, v113, v44
	v_fmac_f32_e32 v62, v102, v8
	v_fmac_f32_e32 v41, v112, v44
	v_fma_f32 v44, v112, v45, -v2
	v_mul_f32_e32 v45, v115, v19
	v_fmac_f32_e32 v66, v98, v16
	v_fmac_f32_e32 v45, v114, v18
	v_mul_f32_e32 v2, v115, v18
	v_add_f32_e32 v18, v4, v62
	v_fma_f32 v70, v114, v19, -v2
	s_waitcnt lgkmcnt(2)
	v_mul_f32_e32 v71, v109, v49
	v_mul_f32_e32 v2, v109, v48
	v_add_f32_e32 v18, v18, v66
	v_fmac_f32_e32 v71, v108, v48
	v_fma_f32 v48, v108, v49, -v2
	v_mul_f32_e32 v49, v111, v27
	v_add_f32_e32 v18, v18, v23
	v_mul_f32_e32 v39, v119, v11
	v_fmac_f32_e32 v49, v110, v26
	v_mul_f32_e32 v2, v111, v26
	v_mul_f32_e32 v77, v127, v29
	v_add_f32_e32 v26, v18, v31
	v_add_f32_e32 v18, v66, v23
	v_fmac_f32_e32 v39, v118, v10
	v_fmac_f32_e32 v77, v126, v28
	v_mul_f32_e32 v10, v127, v28
	v_fma_f32 v28, -0.5, v18, v4
	v_fma_f32 v72, v110, v27, -v2
	v_mul_f32_e32 v75, v131, v21
	v_mul_f32_e32 v9, v131, v20
	v_sub_f32_e32 v18, v63, v32
	v_mov_b32_e32 v27, v28
	v_fmac_f32_e32 v75, v130, v20
	v_fma_f32 v76, v130, v21, -v9
	v_fmac_f32_e32 v27, 0xbf737871, v18
	v_sub_f32_e32 v19, v17, v24
	v_sub_f32_e32 v20, v62, v66
	;; [unrolled: 1-line block ×3, first 2 shown]
	v_fmac_f32_e32 v28, 0x3f737871, v18
	s_waitcnt lgkmcnt(1)
	v_mul_f32_e32 v73, v105, v53
	v_mul_f32_e32 v2, v105, v52
	v_fmac_f32_e32 v27, 0xbf167918, v19
	v_add_f32_e32 v20, v20, v21
	v_fmac_f32_e32 v28, 0x3f167918, v19
	v_fmac_f32_e32 v73, v104, v52
	v_fma_f32 v52, v104, v53, -v2
	v_mul_f32_e32 v53, v107, v35
	v_fmac_f32_e32 v27, 0x3e9e377a, v20
	v_fmac_f32_e32 v28, 0x3e9e377a, v20
	v_add_f32_e32 v20, v62, v31
	v_fmac_f32_e32 v53, v106, v34
	v_mul_f32_e32 v2, v107, v34
	v_fma_f32 v34, -0.5, v20, v4
	v_fma_f32 v78, v126, v29, -v10
	v_mov_b32_e32 v29, v34
	v_fmac_f32_e32 v29, 0x3f737871, v19
	v_sub_f32_e32 v4, v66, v62
	v_sub_f32_e32 v20, v23, v31
	v_fmac_f32_e32 v34, 0xbf737871, v19
	v_fmac_f32_e32 v29, 0xbf167918, v18
	v_add_f32_e32 v4, v4, v20
	v_fmac_f32_e32 v34, 0x3f167918, v18
	v_mul_f32_e32 v64, v97, v15
	v_fmac_f32_e32 v29, 0x3e9e377a, v4
	v_fmac_f32_e32 v34, 0x3e9e377a, v4
	v_add_f32_e32 v4, v5, v63
	v_fmac_f32_e32 v64, v96, v14
	v_mul_f32_e32 v14, v121, v55
	v_add_f32_e32 v4, v4, v17
	v_fma_f32 v35, v106, v35, -v2
	s_waitcnt lgkmcnt(0)
	v_mul_f32_e32 v74, v222, v57
	v_mul_f32_e32 v2, v222, v56
	;; [unrolled: 1-line block ×3, first 2 shown]
	v_fmac_f32_e32 v14, v120, v54
	v_mul_f32_e32 v10, v121, v54
	v_mul_f32_e32 v54, v123, v37
	v_add_f32_e32 v4, v4, v24
	v_fmac_f32_e32 v74, v221, v56
	v_fma_f32 v56, v221, v57, -v2
	v_mul_f32_e32 v57, v135, v13
	v_fma_f32 v16, v134, v13, -v8
	v_fmac_f32_e32 v54, v122, v36
	v_mul_f32_e32 v13, v123, v36
	v_add_f32_e32 v36, v4, v32
	v_add_f32_e32 v4, v17, v24
	v_mul_f32_e32 v2, v133, v43
	v_fma_f32 v10, v120, v55, -v10
	v_fma_f32 v55, v122, v37, -v13
	v_fma_f32 v37, -0.5, v4, v5
	v_fmac_f32_e32 v2, v132, v42
	v_mul_f32_e32 v3, v133, v42
	v_sub_f32_e32 v4, v62, v31
	v_mov_b32_e32 v42, v37
	v_fmac_f32_e32 v42, 0x3f737871, v4
	v_sub_f32_e32 v18, v66, v23
	v_sub_f32_e32 v19, v63, v17
	;; [unrolled: 1-line block ×3, first 2 shown]
	v_fmac_f32_e32 v37, 0xbf737871, v4
	v_fmac_f32_e32 v42, 0x3f167918, v18
	v_add_f32_e32 v19, v19, v20
	v_fmac_f32_e32 v37, 0xbf167918, v18
	v_fmac_f32_e32 v42, 0x3e9e377a, v19
	;; [unrolled: 1-line block ×3, first 2 shown]
	v_add_f32_e32 v19, v63, v32
	v_fma_f32 v3, v132, v43, -v3
	v_mul_f32_e32 v11, v129, v47
	v_fma_f32 v43, -0.5, v19, v5
	v_fmac_f32_e32 v11, v128, v46
	v_mul_f32_e32 v8, v129, v46
	v_mov_b32_e32 v46, v43
	v_fmac_f32_e32 v46, 0xbf737871, v18
	v_fmac_f32_e32 v43, 0x3f737871, v18
	;; [unrolled: 1-line block ×4, first 2 shown]
	v_add_f32_e32 v4, v60, v64
	v_add_f32_e32 v4, v4, v67
	;; [unrolled: 1-line block ×5, first 2 shown]
	v_sub_f32_e32 v5, v17, v63
	v_sub_f32_e32 v17, v24, v32
	v_fma_f32 v24, -0.5, v4, v60
	v_add_f32_e32 v5, v5, v17
	v_sub_f32_e32 v4, v65, v38
	v_mov_b32_e32 v18, v24
	v_fmac_f32_e32 v46, 0x3e9e377a, v5
	v_fmac_f32_e32 v43, 0x3e9e377a, v5
	;; [unrolled: 1-line block ×3, first 2 shown]
	v_sub_f32_e32 v5, v22, v30
	v_sub_f32_e32 v17, v64, v67
	;; [unrolled: 1-line block ×3, first 2 shown]
	v_fmac_f32_e32 v24, 0x3f737871, v4
	v_fmac_f32_e32 v18, 0xbf167918, v5
	v_add_f32_e32 v17, v17, v19
	v_fmac_f32_e32 v24, 0x3f167918, v5
	v_fmac_f32_e32 v18, 0x3e9e377a, v17
	;; [unrolled: 1-line block ×3, first 2 shown]
	v_add_f32_e32 v17, v64, v33
	v_fmac_f32_e32 v60, -0.5, v17
	v_mov_b32_e32 v20, v60
	v_fmac_f32_e32 v20, 0x3f737871, v5
	v_fmac_f32_e32 v60, 0xbf737871, v5
	;; [unrolled: 1-line block ×4, first 2 shown]
	v_add_f32_e32 v4, v61, v65
	v_add_f32_e32 v4, v4, v22
	;; [unrolled: 1-line block ×5, first 2 shown]
	v_fma_f32 v8, v128, v47, -v8
	v_sub_f32_e32 v17, v67, v64
	v_sub_f32_e32 v19, v25, v33
	v_fma_f32 v47, -0.5, v4, v61
	v_add_f32_e32 v17, v17, v19
	v_sub_f32_e32 v4, v64, v33
	v_mov_b32_e32 v33, v47
	v_fmac_f32_e32 v20, 0x3e9e377a, v17
	v_fmac_f32_e32 v60, 0x3e9e377a, v17
	;; [unrolled: 1-line block ×3, first 2 shown]
	v_sub_f32_e32 v5, v67, v25
	v_sub_f32_e32 v17, v65, v22
	;; [unrolled: 1-line block ×3, first 2 shown]
	v_fmac_f32_e32 v47, 0xbf737871, v4
	v_fmac_f32_e32 v33, 0x3f167918, v5
	v_add_f32_e32 v17, v17, v19
	v_fmac_f32_e32 v47, 0xbf167918, v5
	v_fmac_f32_e32 v33, 0x3e9e377a, v17
	;; [unrolled: 1-line block ×3, first 2 shown]
	v_add_f32_e32 v17, v65, v38
	v_fmac_f32_e32 v61, -0.5, v17
	v_mov_b32_e32 v25, v61
	v_fmac_f32_e32 v25, 0xbf737871, v5
	v_sub_f32_e32 v17, v22, v65
	v_sub_f32_e32 v19, v30, v38
	v_fmac_f32_e32 v25, 0x3f167918, v4
	v_add_f32_e32 v17, v17, v19
	v_mul_f32_e32 v13, v255, v58
	v_fmac_f32_e32 v25, 0x3e9e377a, v17
	v_fmac_f32_e32 v61, 0x3f737871, v5
	v_mul_f32_e32 v15, v255, v59
	v_fma_f32 v13, v254, v59, -v13
	v_fmac_f32_e32 v61, 0xbf167918, v4
	v_add_f32_e32 v4, v26, v31
	v_mul_f32_e32 v38, 0xbf737871, v25
	v_add_f32_e32 v5, v36, v32
	v_mul_f32_e32 v59, 0x3e9e377a, v25
	v_sub_f32_e32 v25, v26, v31
	v_sub_f32_e32 v26, v36, v32
	v_add_f32_e32 v36, v6, v39
	v_fmac_f32_e32 v57, v134, v12
	v_mul_f32_e32 v12, v125, v51
	v_fmac_f32_e32 v61, 0x3e9e377a, v17
	v_mul_f32_e32 v30, 0xbf167918, v33
	v_add_f32_e32 v36, v36, v45
	v_fmac_f32_e32 v12, v124, v50
	v_mul_f32_e32 v9, v125, v50
	v_fmac_f32_e32 v30, 0x3f4f1bbd, v18
	v_mul_f32_e32 v50, 0xbf737871, v61
	v_fmac_f32_e32 v59, 0x3f737871, v20
	v_add_f32_e32 v36, v36, v49
	v_fma_f32 v9, v124, v51, -v9
	v_add_f32_e32 v17, v27, v30
	v_fmac_f32_e32 v38, 0x3e9e377a, v20
	v_fmac_f32_e32 v50, 0xbe9e377a, v60
	v_mul_f32_e32 v51, 0xbf167918, v47
	v_add_f32_e32 v20, v46, v59
	v_mul_f32_e32 v47, 0xbf4f1bbd, v47
	v_sub_f32_e32 v27, v27, v30
	v_sub_f32_e32 v30, v46, v59
	v_add_f32_e32 v46, v36, v53
	v_add_f32_e32 v36, v45, v49
	v_fmac_f32_e32 v15, v254, v58
	v_add_f32_e32 v21, v34, v50
	v_mul_f32_e32 v58, 0x3f4f1bbd, v33
	v_fmac_f32_e32 v47, 0x3f167918, v24
	v_sub_f32_e32 v31, v34, v50
	v_fma_f32 v50, -0.5, v36, v6
	v_fmac_f32_e32 v51, 0xbf4f1bbd, v24
	v_fmac_f32_e32 v58, 0x3f167918, v18
	v_add_f32_e32 v24, v37, v47
	v_sub_f32_e32 v34, v37, v47
	v_sub_f32_e32 v36, v40, v35
	v_mov_b32_e32 v47, v50
	v_add_f32_e32 v19, v29, v38
	v_add_f32_e32 v23, v28, v51
	;; [unrolled: 1-line block ×3, first 2 shown]
	v_sub_f32_e32 v29, v29, v38
	v_sub_f32_e32 v33, v28, v51
	;; [unrolled: 1-line block ×3, first 2 shown]
	v_fmac_f32_e32 v47, 0xbf737871, v36
	v_sub_f32_e32 v37, v70, v72
	v_sub_f32_e32 v38, v39, v45
	;; [unrolled: 1-line block ×3, first 2 shown]
	v_fmac_f32_e32 v50, 0x3f737871, v36
	v_fmac_f32_e32 v47, 0xbf167918, v37
	v_add_f32_e32 v38, v38, v42
	v_fmac_f32_e32 v50, 0x3f167918, v37
	v_fmac_f32_e32 v47, 0x3e9e377a, v38
	;; [unrolled: 1-line block ×3, first 2 shown]
	v_add_f32_e32 v38, v39, v53
	v_fma_f32 v6, -0.5, v38, v6
	v_mov_b32_e32 v51, v6
	v_fmac_f32_e32 v51, 0x3f737871, v37
	v_fmac_f32_e32 v6, 0xbf737871, v37
	;; [unrolled: 1-line block ×4, first 2 shown]
	v_add_f32_e32 v36, v7, v40
	v_add_f32_e32 v36, v36, v70
	;; [unrolled: 1-line block ×5, first 2 shown]
	v_sub_f32_e32 v38, v45, v39
	v_sub_f32_e32 v42, v49, v53
	v_fma_f32 v59, -0.5, v36, v7
	v_add_f32_e32 v38, v38, v42
	v_sub_f32_e32 v36, v39, v53
	v_mov_b32_e32 v53, v59
	v_fmac_f32_e32 v51, 0x3e9e377a, v38
	v_fmac_f32_e32 v6, 0x3e9e377a, v38
	;; [unrolled: 1-line block ×3, first 2 shown]
	v_sub_f32_e32 v37, v45, v49
	v_sub_f32_e32 v38, v40, v70
	;; [unrolled: 1-line block ×3, first 2 shown]
	v_fmac_f32_e32 v59, 0xbf737871, v36
	v_fmac_f32_e32 v53, 0x3f167918, v37
	v_add_f32_e32 v38, v38, v39
	v_fmac_f32_e32 v59, 0xbf167918, v37
	v_fmac_f32_e32 v53, 0x3e9e377a, v38
	;; [unrolled: 1-line block ×3, first 2 shown]
	v_add_f32_e32 v38, v40, v35
	v_mul_f32_e32 v61, 0xbe9e377a, v61
	v_fmac_f32_e32 v7, -0.5, v38
	v_fmac_f32_e32 v61, 0x3f737871, v60
	v_mov_b32_e32 v60, v7
	v_fmac_f32_e32 v60, 0xbf737871, v37
	v_sub_f32_e32 v38, v70, v40
	v_sub_f32_e32 v35, v72, v35
	v_fmac_f32_e32 v7, 0x3f737871, v37
	v_fmac_f32_e32 v60, 0x3f167918, v36
	v_add_f32_e32 v35, v38, v35
	v_fmac_f32_e32 v7, 0xbf167918, v36
	v_fmac_f32_e32 v60, 0x3e9e377a, v35
	;; [unrolled: 1-line block ×3, first 2 shown]
	v_add_f32_e32 v35, v68, v41
	v_add_f32_e32 v35, v35, v71
	;; [unrolled: 1-line block ×5, first 2 shown]
	v_fma_f32 v49, -0.5, v35, v68
	v_sub_f32_e32 v35, v44, v56
	v_mov_b32_e32 v38, v49
	v_fmac_f32_e32 v38, 0xbf737871, v35
	v_sub_f32_e32 v36, v48, v52
	v_sub_f32_e32 v37, v41, v71
	v_sub_f32_e32 v39, v74, v73
	v_fmac_f32_e32 v49, 0x3f737871, v35
	v_fmac_f32_e32 v38, 0xbf167918, v36
	v_add_f32_e32 v37, v37, v39
	v_fmac_f32_e32 v49, 0x3f167918, v36
	v_fmac_f32_e32 v38, 0x3e9e377a, v37
	;; [unrolled: 1-line block ×3, first 2 shown]
	v_add_f32_e32 v37, v41, v74
	v_fmac_f32_e32 v68, -0.5, v37
	v_mov_b32_e32 v40, v68
	v_fmac_f32_e32 v40, 0x3f737871, v36
	v_fmac_f32_e32 v68, 0xbf737871, v36
	;; [unrolled: 1-line block ×4, first 2 shown]
	v_add_f32_e32 v35, v69, v44
	v_add_f32_e32 v35, v35, v48
	;; [unrolled: 1-line block ×4, first 2 shown]
	v_sub_f32_e32 v32, v43, v61
	v_add_f32_e32 v61, v35, v56
	v_add_f32_e32 v35, v48, v52
	v_sub_f32_e32 v37, v71, v41
	v_sub_f32_e32 v39, v73, v74
	v_fma_f32 v62, -0.5, v35, v69
	v_add_f32_e32 v37, v37, v39
	v_sub_f32_e32 v35, v41, v74
	v_mov_b32_e32 v42, v62
	v_fmac_f32_e32 v40, 0x3e9e377a, v37
	v_fmac_f32_e32 v68, 0x3e9e377a, v37
	;; [unrolled: 1-line block ×3, first 2 shown]
	v_sub_f32_e32 v36, v71, v73
	v_sub_f32_e32 v37, v44, v48
	;; [unrolled: 1-line block ×3, first 2 shown]
	v_fmac_f32_e32 v62, 0xbf737871, v35
	v_fmac_f32_e32 v42, 0x3f167918, v36
	v_add_f32_e32 v37, v37, v39
	v_fmac_f32_e32 v62, 0xbf167918, v36
	v_fmac_f32_e32 v42, 0x3e9e377a, v37
	;; [unrolled: 1-line block ×3, first 2 shown]
	v_add_f32_e32 v37, v44, v56
	v_fmac_f32_e32 v69, -0.5, v37
	v_mov_b32_e32 v63, v69
	v_fmac_f32_e32 v63, 0xbf737871, v36
	v_sub_f32_e32 v37, v48, v44
	v_sub_f32_e32 v39, v52, v56
	v_fmac_f32_e32 v69, 0x3f737871, v36
	v_mul_f32_e32 v48, 0xbf167918, v42
	v_mul_f32_e32 v65, 0x3f4f1bbd, v42
	v_fmac_f32_e32 v63, 0x3f167918, v35
	v_add_f32_e32 v37, v37, v39
	v_fmac_f32_e32 v69, 0xbf167918, v35
	v_fmac_f32_e32 v48, 0x3f4f1bbd, v38
	;; [unrolled: 1-line block ×5, first 2 shown]
	v_add_f32_e32 v37, v47, v48
	v_add_f32_e32 v38, v53, v65
	v_sub_f32_e32 v47, v47, v48
	v_sub_f32_e32 v48, v53, v65
	v_add_f32_e32 v53, v0, v57
	v_mul_f32_e32 v56, 0xbf737871, v69
	v_add_f32_e32 v53, v53, v75
	v_fmac_f32_e32 v56, 0xbe9e377a, v68
	v_add_f32_e32 v53, v53, v77
	v_mul_f32_e32 v52, 0xbf737871, v63
	v_add_f32_e32 v41, v6, v56
	v_mul_f32_e32 v64, 0xbf167918, v62
	v_mul_f32_e32 v62, 0xbf4f1bbd, v62
	v_sub_f32_e32 v6, v6, v56
	v_add_f32_e32 v56, v53, v54
	v_add_f32_e32 v53, v75, v77
	;; [unrolled: 1-line block ×3, first 2 shown]
	v_fmac_f32_e32 v52, 0x3e9e377a, v40
	v_add_f32_e32 v36, v58, v61
	v_mul_f32_e32 v63, 0x3e9e377a, v63
	v_fmac_f32_e32 v62, 0x3f167918, v49
	v_sub_f32_e32 v45, v46, v45
	v_sub_f32_e32 v46, v58, v61
	v_fma_f32 v58, -0.5, v53, v0
	v_add_f32_e32 v39, v51, v52
	v_fmac_f32_e32 v64, 0xbf4f1bbd, v49
	v_fmac_f32_e32 v63, 0x3f737871, v40
	v_add_f32_e32 v44, v59, v62
	v_sub_f32_e32 v49, v51, v52
	v_sub_f32_e32 v52, v59, v62
	;; [unrolled: 1-line block ×3, first 2 shown]
	v_mov_b32_e32 v59, v58
	v_add_f32_e32 v43, v50, v64
	v_add_f32_e32 v40, v60, v63
	v_sub_f32_e32 v51, v50, v64
	v_sub_f32_e32 v50, v60, v63
	v_fmac_f32_e32 v59, 0xbf737871, v53
	v_sub_f32_e32 v60, v76, v78
	v_sub_f32_e32 v61, v57, v75
	;; [unrolled: 1-line block ×3, first 2 shown]
	v_fmac_f32_e32 v58, 0x3f737871, v53
	v_fmac_f32_e32 v59, 0xbf167918, v60
	v_add_f32_e32 v61, v61, v62
	v_fmac_f32_e32 v58, 0x3f167918, v60
	v_fmac_f32_e32 v59, 0x3e9e377a, v61
	;; [unrolled: 1-line block ×3, first 2 shown]
	v_add_f32_e32 v61, v57, v54
	v_fma_f32 v0, -0.5, v61, v0
	v_mov_b32_e32 v61, v0
	v_fmac_f32_e32 v61, 0x3f737871, v60
	v_fmac_f32_e32 v0, 0xbf737871, v60
	;; [unrolled: 1-line block ×4, first 2 shown]
	v_add_f32_e32 v53, v1, v16
	v_add_f32_e32 v53, v53, v76
	v_sub_f32_e32 v62, v75, v57
	v_sub_f32_e32 v63, v77, v54
	v_add_f32_e32 v53, v53, v78
	v_add_f32_e32 v62, v62, v63
	;; [unrolled: 1-line block ×4, first 2 shown]
	v_fmac_f32_e32 v61, 0x3e9e377a, v62
	v_fmac_f32_e32 v0, 0x3e9e377a, v62
	v_fma_f32 v62, -0.5, v53, v1
	v_sub_f32_e32 v53, v57, v54
	v_mov_b32_e32 v63, v62
	v_fmac_f32_e32 v63, 0x3f737871, v53
	v_sub_f32_e32 v54, v75, v77
	v_sub_f32_e32 v57, v16, v76
	;; [unrolled: 1-line block ×3, first 2 shown]
	v_fmac_f32_e32 v62, 0xbf737871, v53
	v_fmac_f32_e32 v63, 0x3f167918, v54
	v_add_f32_e32 v57, v57, v64
	v_fmac_f32_e32 v62, 0xbf167918, v54
	v_fmac_f32_e32 v63, 0x3e9e377a, v57
	;; [unrolled: 1-line block ×3, first 2 shown]
	v_add_f32_e32 v57, v16, v55
	v_fmac_f32_e32 v1, -0.5, v57
	v_mov_b32_e32 v64, v1
	v_fmac_f32_e32 v64, 0xbf737871, v54
	v_fmac_f32_e32 v1, 0x3f737871, v54
	v_fmac_f32_e32 v64, 0x3f167918, v53
	v_fmac_f32_e32 v1, 0xbf167918, v53
	v_add_f32_e32 v53, v12, v14
	v_mul_f32_e32 v66, 0xbe9e377a, v69
	v_sub_f32_e32 v16, v76, v16
	v_sub_f32_e32 v55, v78, v55
	v_fma_f32 v54, -0.5, v53, v2
	v_fmac_f32_e32 v66, 0x3f737871, v68
	v_add_f32_e32 v16, v16, v55
	v_sub_f32_e32 v53, v8, v13
	v_mov_b32_e32 v55, v54
	v_add_f32_e32 v42, v7, v66
	v_sub_f32_e32 v7, v7, v66
	v_fmac_f32_e32 v55, 0xbf737871, v53
	v_sub_f32_e32 v57, v9, v10
	v_sub_f32_e32 v65, v11, v12
	;; [unrolled: 1-line block ×3, first 2 shown]
	v_fmac_f32_e32 v54, 0x3f737871, v53
	v_fmac_f32_e32 v55, 0xbf167918, v57
	v_add_f32_e32 v65, v65, v66
	v_fmac_f32_e32 v54, 0x3f167918, v57
	v_fmac_f32_e32 v55, 0x3e9e377a, v65
	;; [unrolled: 1-line block ×3, first 2 shown]
	v_add_f32_e32 v65, v11, v15
	v_fmac_f32_e32 v64, 0x3e9e377a, v16
	v_fmac_f32_e32 v1, 0x3e9e377a, v16
	v_add_f32_e32 v16, v2, v11
	v_fmac_f32_e32 v2, -0.5, v65
	v_mov_b32_e32 v65, v2
	v_fmac_f32_e32 v65, 0x3f737871, v57
	v_fmac_f32_e32 v2, 0xbf737871, v57
	;; [unrolled: 1-line block ×4, first 2 shown]
	v_add_f32_e32 v53, v3, v8
	v_sub_f32_e32 v66, v12, v11
	v_sub_f32_e32 v67, v14, v15
	v_add_f32_e32 v53, v53, v9
	v_add_f32_e32 v66, v66, v67
	;; [unrolled: 1-line block ×4, first 2 shown]
	v_fmac_f32_e32 v65, 0x3e9e377a, v66
	v_fmac_f32_e32 v2, 0x3e9e377a, v66
	v_add_f32_e32 v66, v53, v13
	v_add_f32_e32 v53, v9, v10
	;; [unrolled: 1-line block ×3, first 2 shown]
	v_fma_f32 v57, -0.5, v53, v3
	v_add_f32_e32 v16, v16, v15
	v_sub_f32_e32 v11, v11, v15
	v_mov_b32_e32 v15, v57
	v_fmac_f32_e32 v15, 0x3f737871, v11
	v_sub_f32_e32 v12, v12, v14
	v_sub_f32_e32 v14, v8, v9
	;; [unrolled: 1-line block ×3, first 2 shown]
	v_fmac_f32_e32 v57, 0xbf737871, v11
	v_fmac_f32_e32 v15, 0x3f167918, v12
	v_add_f32_e32 v14, v14, v53
	v_fmac_f32_e32 v57, 0xbf167918, v12
	v_fmac_f32_e32 v15, 0x3e9e377a, v14
	;; [unrolled: 1-line block ×3, first 2 shown]
	v_add_f32_e32 v14, v8, v13
	v_fmac_f32_e32 v3, -0.5, v14
	v_mov_b32_e32 v67, v3
	v_fmac_f32_e32 v67, 0xbf737871, v12
	v_sub_f32_e32 v8, v9, v8
	v_sub_f32_e32 v9, v10, v13
	v_fmac_f32_e32 v67, 0x3f167918, v11
	v_add_f32_e32 v8, v8, v9
	v_fmac_f32_e32 v3, 0x3f737871, v12
	v_fmac_f32_e32 v67, 0x3e9e377a, v8
	;; [unrolled: 1-line block ×4, first 2 shown]
	v_mul_f32_e32 v68, 0xbf167918, v15
	v_mul_f32_e32 v69, 0xbf737871, v67
	;; [unrolled: 1-line block ×4, first 2 shown]
	v_fmac_f32_e32 v68, 0x3f4f1bbd, v55
	v_fmac_f32_e32 v69, 0x3e9e377a, v65
	v_mul_f32_e32 v70, 0xbf737871, v3
	v_mul_f32_e32 v71, 0xbf167918, v57
	v_fmac_f32_e32 v72, 0x3f167918, v55
	v_fmac_f32_e32 v67, 0x3f737871, v65
	v_mul_f32_e32 v65, 0xbe9e377a, v3
	v_mul_f32_e32 v73, 0xbf4f1bbd, v57
	v_add_f32_e32 v8, v56, v16
	v_add_f32_e32 v10, v59, v68
	v_add_f32_e32 v12, v61, v69
	v_fmac_f32_e32 v70, 0xbe9e377a, v2
	v_fmac_f32_e32 v71, 0xbf4f1bbd, v54
	v_add_f32_e32 v9, v60, v66
	v_add_f32_e32 v11, v63, v72
	v_add_f32_e32 v13, v64, v67
	v_fmac_f32_e32 v65, 0x3f737871, v2
	v_fmac_f32_e32 v73, 0x3f167918, v54
	v_sub_f32_e32 v2, v56, v16
	ds_write_b64 v249, v[17:18] offset:2400
	ds_write_b64 v249, v[19:20] offset:4800
	;; [unrolled: 1-line block ×9, first 2 shown]
	ds_write2_b64 v249, v[4:5], v[35:36] offset1:100
	ds_write_b64 v249, v[8:9] offset:1600
	ds_write2_b64 v196, v[37:38], v[10:11] offset0:144 offset1:244
	v_add_u32_e32 v4, 0x1400, v249
	v_add_f32_e32 v14, v0, v70
	v_add_f32_e32 v53, v58, v71
	;; [unrolled: 1-line block ×4, first 2 shown]
	v_sub_f32_e32 v55, v59, v68
	v_sub_f32_e32 v57, v61, v69
	;; [unrolled: 1-line block ×8, first 2 shown]
	ds_write2_b64 v4, v[39:40], v[12:13] offset0:60 offset1:160
	ds_write2_b64 v216, v[41:42], v[14:15] offset0:104 offset1:204
	;; [unrolled: 1-line block ×6, first 2 shown]
	v_add_u32_e32 v2, 0x4c00, v249
	v_sub_f32_e32 v60, v62, v73
	ds_write2_b64 v2, v[6:7], v[0:1] offset0:68 offset1:168
	ds_write2_b64 v193, v[51:52], v[59:60] offset0:112 offset1:212
	s_waitcnt lgkmcnt(0)
	s_barrier
	ds_read2_b64 v[10:13], v249 offset1:100
	v_mov_b32_e32 v6, s13
	v_mov_b32_e32 v30, 0xffffaec0
	s_waitcnt lgkmcnt(0)
	v_mul_f32_e32 v0, v234, v11
	v_fmac_f32_e32 v0, v233, v10
	v_cvt_f64_f32_e32 v[0:1], v0
	v_mul_f64 v[0:1], v[0:1], s[2:3]
	v_cvt_f32_f64_e32 v0, v[0:1]
	v_mul_f32_e32 v1, v234, v10
	v_fma_f32 v1, v233, v11, -v1
	v_cvt_f64_f32_e32 v[1:2], v1
	v_mul_f64 v[1:2], v[1:2], s[2:3]
	v_cvt_f32_f64_e32 v1, v[1:2]
	v_mad_u64_u32 v[2:3], s[4:5], s0, v227, 0
	v_mad_u64_u32 v[3:4], s[4:5], s1, v227, v[3:4]
	buffer_load_dword v4, off, s[24:27], 0 offset:152 ; 4-byte Folded Reload
	buffer_load_dword v5, off, s[24:27], 0 offset:156 ; 4-byte Folded Reload
	ds_read2_b64 v[14:17], v202 offset0:88 offset1:188
	v_lshlrev_b64 v[2:3], 3, v[2:3]
	s_mul_i32 s4, s1, 0x960
	s_mul_hi_u32 s5, s0, 0x960
	s_add_i32 s4, s5, s4
	s_mul_i32 s5, s0, 0x960
	ds_read2_b64 v[18:21], v203 offset0:48 offset1:148
	ds_read2_b64 v[22:25], v247 offset0:8 offset1:108
	;; [unrolled: 1-line block ×3, first 2 shown]
	s_mulk_i32 s1, 0xaec0
	s_sub_i32 s1, s1, s0
	s_waitcnt vmcnt(0)
	v_lshlrev_b64 v[4:5], 3, v[4:5]
	v_add_co_u32_e32 v4, vcc, s12, v4
	v_addc_co_u32_e32 v5, vcc, v6, v5, vcc
	v_add_co_u32_e32 v4, vcc, v4, v2
	v_addc_co_u32_e32 v5, vcc, v5, v3, vcc
	global_store_dwordx2 v[4:5], v[0:1], off
	ds_read2_b64 v[0:3], v199 offset0:72 offset1:172
	s_waitcnt lgkmcnt(0)
	v_mul_f32_e32 v6, v236, v3
	v_fmac_f32_e32 v6, v235, v2
	v_mul_f32_e32 v2, v236, v2
	v_fma_f32 v2, v235, v3, -v2
	v_cvt_f64_f32_e32 v[6:7], v6
	v_cvt_f64_f32_e32 v[2:3], v2
	v_mul_f64 v[6:7], v[6:7], s[2:3]
	v_mul_f64 v[2:3], v[2:3], s[2:3]
	v_cvt_f32_f64_e32 v6, v[6:7]
	v_cvt_f32_f64_e32 v7, v[2:3]
	v_add_co_u32_e32 v2, vcc, s5, v4
	v_mul_f32_e32 v4, v238, v15
	v_mov_b32_e32 v3, s4
	v_fmac_f32_e32 v4, v237, v14
	v_addc_co_u32_e32 v3, vcc, v5, v3, vcc
	v_cvt_f64_f32_e32 v[4:5], v4
	global_store_dwordx2 v[2:3], v[6:7], off
	v_mul_f64 v[4:5], v[4:5], s[2:3]
	v_cvt_f32_f64_e32 v4, v[4:5]
	v_mul_f32_e32 v5, v238, v14
	v_fma_f32 v5, v237, v15, -v5
	v_cvt_f64_f32_e32 v[5:6], v5
	v_mul_f64 v[5:6], v[5:6], s[2:3]
	v_cvt_f32_f64_e32 v5, v[5:6]
	v_add_co_u32_e32 v6, vcc, s5, v2
	v_mov_b32_e32 v2, s4
	v_addc_co_u32_e32 v7, vcc, v3, v2, vcc
	global_store_dwordx2 v[6:7], v[4:5], off
	ds_read2_b64 v[2:5], v201 offset0:32 offset1:132
	s_waitcnt lgkmcnt(0)
	v_mul_f32_e32 v8, v242, v5
	v_fmac_f32_e32 v8, v241, v4
	v_mul_f32_e32 v4, v242, v4
	v_fma_f32 v4, v241, v5, -v4
	v_cvt_f64_f32_e32 v[8:9], v8
	v_cvt_f64_f32_e32 v[4:5], v4
	v_mul_f64 v[8:9], v[8:9], s[2:3]
	v_mul_f64 v[4:5], v[4:5], s[2:3]
	v_cvt_f32_f64_e32 v8, v[8:9]
	v_cvt_f32_f64_e32 v9, v[4:5]
	v_add_co_u32_e32 v4, vcc, s5, v6
	v_mul_f32_e32 v6, v240, v19
	v_mov_b32_e32 v5, s4
	v_fmac_f32_e32 v6, v239, v18
	v_addc_co_u32_e32 v5, vcc, v7, v5, vcc
	v_cvt_f64_f32_e32 v[6:7], v6
	global_store_dwordx2 v[4:5], v[8:9], off
	v_mul_f64 v[6:7], v[6:7], s[2:3]
	v_cvt_f32_f64_e32 v6, v[6:7]
	v_mul_f32_e32 v7, v240, v18
	v_fma_f32 v7, v239, v19, -v7
	v_cvt_f64_f32_e32 v[7:8], v7
	v_mul_f64 v[7:8], v[7:8], s[2:3]
	v_cvt_f32_f64_e32 v7, v[7:8]
	v_add_co_u32_e32 v8, vcc, s5, v4
	v_mov_b32_e32 v4, s4
	v_addc_co_u32_e32 v9, vcc, v5, v4, vcc
	global_store_dwordx2 v[8:9], v[6:7], off
	ds_read2_b64 v[4:7], v232 offset0:120 offset1:220
	s_waitcnt lgkmcnt(0)
	v_mul_f32_e32 v10, v246, v7
	v_fmac_f32_e32 v10, v245, v6
	v_mul_f32_e32 v6, v246, v6
	v_fma_f32 v6, v245, v7, -v6
	v_cvt_f64_f32_e32 v[10:11], v10
	v_cvt_f64_f32_e32 v[6:7], v6
	v_mul_f64 v[10:11], v[10:11], s[2:3]
	v_mul_f64 v[6:7], v[6:7], s[2:3]
	v_cvt_f32_f64_e32 v10, v[10:11]
	v_cvt_f32_f64_e32 v11, v[6:7]
	v_add_co_u32_e32 v6, vcc, s5, v8
	v_mul_f32_e32 v8, v251, v23
	v_mov_b32_e32 v7, s4
	v_fmac_f32_e32 v8, v250, v22
	v_addc_co_u32_e32 v7, vcc, v9, v7, vcc
	v_cvt_f64_f32_e32 v[8:9], v8
	global_store_dwordx2 v[6:7], v[10:11], off
	v_mul_f64 v[8:9], v[8:9], s[2:3]
	v_cvt_f32_f64_e32 v8, v[8:9]
	v_mul_f32_e32 v9, v251, v22
	v_fma_f32 v9, v250, v23, -v9
	v_cvt_f64_f32_e32 v[9:10], v9
	v_mul_f64 v[9:10], v[9:10], s[2:3]
	v_cvt_f32_f64_e32 v9, v[9:10]
	v_add_co_u32_e32 v10, vcc, s5, v6
	v_mov_b32_e32 v6, s4
	v_addc_co_u32_e32 v11, vcc, v7, v6, vcc
	global_store_dwordx2 v[10:11], v[8:9], off
	ds_read2_b64 v[6:9], v200 offset0:80 offset1:180
	s_waitcnt lgkmcnt(0)
	v_mul_f32_e32 v14, v253, v9
	v_fmac_f32_e32 v14, v252, v8
	v_mul_f32_e32 v8, v253, v8
	v_fma_f32 v8, v252, v9, -v8
	v_cvt_f64_f32_e32 v[14:15], v14
	v_cvt_f64_f32_e32 v[8:9], v8
	v_mul_f64 v[14:15], v[14:15], s[2:3]
	v_mul_f64 v[8:9], v[8:9], s[2:3]
	v_cvt_f32_f64_e32 v14, v[14:15]
	v_cvt_f32_f64_e32 v15, v[8:9]
	v_add_co_u32_e32 v8, vcc, s5, v10
	v_mov_b32_e32 v9, s4
	v_addc_co_u32_e32 v9, vcc, v11, v9, vcc
	global_store_dwordx2 v[8:9], v[14:15], off
	buffer_load_dword v14, off, s[24:27], 0 offset:96 ; 4-byte Folded Reload
	s_nop 0
	buffer_load_dword v15, off, s[24:27], 0 offset:100 ; 4-byte Folded Reload
	s_waitcnt vmcnt(0)
	v_mul_f32_e32 v10, v15, v27
	v_fmac_f32_e32 v10, v14, v26
	v_cvt_f64_f32_e32 v[10:11], v10
	v_mul_f64 v[10:11], v[10:11], s[2:3]
	v_cvt_f32_f64_e32 v10, v[10:11]
	v_mul_f32_e32 v11, v15, v26
	v_fma_f32 v11, v14, v27, -v11
	v_cvt_f64_f32_e32 v[14:15], v11
	v_mul_f64 v[14:15], v[14:15], s[2:3]
	v_cvt_f32_f64_e32 v11, v[14:15]
	v_add_co_u32_e32 v14, vcc, s5, v8
	v_mov_b32_e32 v8, s4
	v_addc_co_u32_e32 v15, vcc, v9, v8, vcc
	global_store_dwordx2 v[14:15], v[10:11], off
	ds_read2_b64 v[8:11], v197 offset0:40 offset1:140
	buffer_load_dword v22, off, s[24:27], 0 offset:80 ; 4-byte Folded Reload
	buffer_load_dword v23, off, s[24:27], 0 offset:84 ; 4-byte Folded Reload
	s_waitcnt vmcnt(0) lgkmcnt(0)
	v_mul_f32_e32 v18, v23, v11
	v_fmac_f32_e32 v18, v22, v10
	v_mul_f32_e32 v10, v23, v10
	v_fma_f32 v10, v22, v11, -v10
	v_cvt_f64_f32_e32 v[18:19], v18
	v_cvt_f64_f32_e32 v[10:11], v10
	v_mul_f64 v[18:19], v[18:19], s[2:3]
	v_mul_f64 v[10:11], v[10:11], s[2:3]
	v_cvt_f32_f64_e32 v18, v[18:19]
	v_cvt_f32_f64_e32 v19, v[10:11]
	v_add_co_u32_e32 v10, vcc, s5, v14
	v_mul_f32_e32 v14, v244, v13
	v_fmac_f32_e32 v14, v243, v12
	v_mul_f32_e32 v12, v244, v12
	v_mov_b32_e32 v11, s4
	v_fma_f32 v12, v243, v13, -v12
	v_addc_co_u32_e32 v11, vcc, v15, v11, vcc
	v_cvt_f64_f32_e32 v[14:15], v14
	v_cvt_f64_f32_e32 v[12:13], v12
	global_store_dwordx2 v[10:11], v[18:19], off
	v_mad_u64_u32 v[18:19], s[6:7], s0, v30, v[10:11]
	v_mul_f64 v[14:15], v[14:15], s[2:3]
	v_mul_f64 v[12:13], v[12:13], s[2:3]
	v_add_u32_e32 v19, s1, v19
	v_cvt_f32_f64_e32 v14, v[14:15]
	v_cvt_f32_f64_e32 v15, v[12:13]
	ds_read2_b64 v[10:13], v196 offset0:144 offset1:244
	global_store_dwordx2 v[18:19], v[14:15], off
	buffer_load_dword v22, off, s[24:27], 0 offset:144 ; 4-byte Folded Reload
	buffer_load_dword v23, off, s[24:27], 0 offset:148 ; 4-byte Folded Reload
	s_waitcnt vmcnt(0) lgkmcnt(0)
	v_mul_f32_e32 v14, v23, v11
	v_fmac_f32_e32 v14, v22, v10
	v_mul_f32_e32 v10, v23, v10
	v_fma_f32 v10, v22, v11, -v10
	v_cvt_f64_f32_e32 v[14:15], v14
	v_cvt_f64_f32_e32 v[10:11], v10
	v_mul_f64 v[14:15], v[14:15], s[2:3]
	v_mul_f64 v[10:11], v[10:11], s[2:3]
	v_cvt_f32_f64_e32 v14, v[14:15]
	v_cvt_f32_f64_e32 v15, v[10:11]
	v_add_co_u32_e32 v10, vcc, s5, v18
	v_mov_b32_e32 v11, s4
	v_addc_co_u32_e32 v11, vcc, v19, v11, vcc
	global_store_dwordx2 v[10:11], v[14:15], off
	buffer_load_dword v18, off, s[24:27], 0 offset:104 ; 4-byte Folded Reload
	buffer_load_dword v19, off, s[24:27], 0 offset:108 ; 4-byte Folded Reload
	v_add_co_u32_e32 v10, vcc, s5, v10
	s_waitcnt vmcnt(0)
	v_mul_f32_e32 v14, v19, v17
	v_fmac_f32_e32 v14, v18, v16
	v_cvt_f64_f32_e32 v[14:15], v14
	v_mul_f64 v[14:15], v[14:15], s[2:3]
	v_cvt_f32_f64_e32 v14, v[14:15]
	v_mul_f32_e32 v15, v19, v16
	v_fma_f32 v15, v18, v17, -v15
	v_cvt_f64_f32_e32 v[15:16], v15
	v_mul_f64 v[15:16], v[15:16], s[2:3]
	v_cvt_f32_f64_e32 v15, v[15:16]
	v_mov_b32_e32 v16, s4
	v_addc_co_u32_e32 v11, vcc, v11, v16, vcc
	global_store_dwordx2 v[10:11], v[14:15], off
	ds_read2_b64 v[14:17], v216 offset0:104 offset1:204
	buffer_load_dword v22, off, s[24:27], 0 offset:72 ; 4-byte Folded Reload
	buffer_load_dword v23, off, s[24:27], 0 offset:76 ; 4-byte Folded Reload
	v_add_co_u32_e32 v10, vcc, s5, v10
	s_waitcnt vmcnt(0) lgkmcnt(0)
	v_mul_f32_e32 v18, v23, v15
	v_fmac_f32_e32 v18, v22, v14
	v_mul_f32_e32 v14, v23, v14
	v_fma_f32 v14, v22, v15, -v14
	v_cvt_f64_f32_e32 v[18:19], v18
	v_cvt_f64_f32_e32 v[14:15], v14
	v_mul_f64 v[18:19], v[18:19], s[2:3]
	v_mul_f64 v[14:15], v[14:15], s[2:3]
	v_cvt_f32_f64_e32 v18, v[18:19]
	v_cvt_f32_f64_e32 v19, v[14:15]
	v_mov_b32_e32 v14, s4
	v_addc_co_u32_e32 v11, vcc, v11, v14, vcc
	global_store_dwordx2 v[10:11], v[18:19], off
	buffer_load_dword v18, off, s[24:27], 0 offset:24 ; 4-byte Folded Reload
	s_nop 0
	buffer_load_dword v19, off, s[24:27], 0 offset:28 ; 4-byte Folded Reload
	v_add_co_u32_e32 v10, vcc, s5, v10
	s_waitcnt vmcnt(0)
	v_mul_f32_e32 v14, v19, v21
	v_fmac_f32_e32 v14, v18, v20
	v_cvt_f64_f32_e32 v[14:15], v14
	v_mul_f64 v[14:15], v[14:15], s[2:3]
	v_cvt_f32_f64_e32 v14, v[14:15]
	v_mul_f32_e32 v15, v19, v20
	v_fma_f32 v15, v18, v21, -v15
	v_cvt_f64_f32_e32 v[18:19], v15
	v_mul_f64 v[18:19], v[18:19], s[2:3]
	v_cvt_f32_f64_e32 v15, v[18:19]
	v_mov_b32_e32 v18, s4
	v_addc_co_u32_e32 v11, vcc, v11, v18, vcc
	global_store_dwordx2 v[10:11], v[14:15], off
	ds_read2_b64 v[18:21], v195 offset0:64 offset1:164
	buffer_load_dword v22, off, s[24:27], 0 offset:88 ; 4-byte Folded Reload
	buffer_load_dword v23, off, s[24:27], 0 offset:92 ; 4-byte Folded Reload
	v_add_co_u32_e32 v10, vcc, s5, v10
	s_waitcnt vmcnt(0) lgkmcnt(0)
	v_mul_f32_e32 v14, v23, v19
	v_fmac_f32_e32 v14, v22, v18
	v_cvt_f64_f32_e32 v[14:15], v14
	v_mul_f64 v[14:15], v[14:15], s[2:3]
	v_cvt_f32_f64_e32 v14, v[14:15]
	v_mul_f32_e32 v15, v23, v18
	v_fma_f32 v15, v22, v19, -v15
	v_cvt_f64_f32_e32 v[18:19], v15
	v_mul_f64 v[18:19], v[18:19], s[2:3]
	v_cvt_f32_f64_e32 v15, v[18:19]
	v_mov_b32_e32 v18, s4
	v_addc_co_u32_e32 v11, vcc, v11, v18, vcc
	global_store_dwordx2 v[10:11], v[14:15], off
	buffer_load_dword v18, off, s[24:27], 0 offset:32 ; 4-byte Folded Reload
	buffer_load_dword v19, off, s[24:27], 0 offset:36 ; 4-byte Folded Reload
	v_add_co_u32_e32 v10, vcc, s5, v10
	s_waitcnt vmcnt(0)
	v_mul_f32_e32 v14, v19, v25
	v_fmac_f32_e32 v14, v18, v24
	v_cvt_f64_f32_e32 v[14:15], v14
	v_mul_f64 v[14:15], v[14:15], s[2:3]
	v_cvt_f32_f64_e32 v14, v[14:15]
	v_mul_f32_e32 v15, v19, v24
	v_fma_f32 v15, v18, v25, -v15
	v_cvt_f64_f32_e32 v[18:19], v15
	ds_read2_b64 v[22:25], v194 offset0:152 offset1:252
	v_mul_f64 v[18:19], v[18:19], s[2:3]
	v_cvt_f32_f64_e32 v15, v[18:19]
	v_mov_b32_e32 v18, s4
	v_addc_co_u32_e32 v11, vcc, v11, v18, vcc
	global_store_dwordx2 v[10:11], v[14:15], off
	buffer_load_dword v18, off, s[24:27], 0 offset:16 ; 4-byte Folded Reload
	buffer_load_dword v19, off, s[24:27], 0 offset:20 ; 4-byte Folded Reload
	v_add_co_u32_e32 v10, vcc, s5, v10
	s_waitcnt vmcnt(0) lgkmcnt(0)
	v_mul_f32_e32 v14, v19, v23
	v_fmac_f32_e32 v14, v18, v22
	v_cvt_f64_f32_e32 v[14:15], v14
	v_mul_f64 v[14:15], v[14:15], s[2:3]
	v_cvt_f32_f64_e32 v14, v[14:15]
	v_mul_f32_e32 v15, v19, v22
	v_fma_f32 v15, v18, v23, -v15
	v_cvt_f64_f32_e32 v[18:19], v15
	v_mul_f64 v[18:19], v[18:19], s[2:3]
	v_cvt_f32_f64_e32 v15, v[18:19]
	v_mov_b32_e32 v18, s4
	v_addc_co_u32_e32 v11, vcc, v11, v18, vcc
	global_store_dwordx2 v[10:11], v[14:15], off
	buffer_load_dword v18, off, s[24:27], 0 offset:8 ; 4-byte Folded Reload
	buffer_load_dword v19, off, s[24:27], 0 offset:12 ; 4-byte Folded Reload
	v_add_co_u32_e32 v10, vcc, s5, v10
	s_waitcnt vmcnt(0)
	v_mul_f32_e32 v14, v19, v29
	v_fmac_f32_e32 v14, v18, v28
	v_cvt_f64_f32_e32 v[14:15], v14
	v_mul_f64 v[14:15], v[14:15], s[2:3]
	v_cvt_f32_f64_e32 v14, v[14:15]
	v_mul_f32_e32 v15, v19, v28
	v_fma_f32 v15, v18, v29, -v15
	v_cvt_f64_f32_e32 v[18:19], v15
	ds_read2_b64 v[26:29], v193 offset0:112 offset1:212
	v_mul_f64 v[18:19], v[18:19], s[2:3]
	v_cvt_f32_f64_e32 v15, v[18:19]
	v_mov_b32_e32 v18, s4
	v_addc_co_u32_e32 v11, vcc, v11, v18, vcc
	global_store_dwordx2 v[10:11], v[14:15], off
	buffer_load_dword v18, off, s[24:27], 0 ; 4-byte Folded Reload
	buffer_load_dword v19, off, s[24:27], 0 offset:4 ; 4-byte Folded Reload
	v_add_co_u32_e32 v10, vcc, s5, v10
	s_waitcnt vmcnt(0) lgkmcnt(0)
	v_mul_f32_e32 v14, v19, v27
	v_fmac_f32_e32 v14, v18, v26
	v_cvt_f64_f32_e32 v[14:15], v14
	v_mul_f64 v[14:15], v[14:15], s[2:3]
	v_cvt_f32_f64_e32 v14, v[14:15]
	v_mul_f32_e32 v15, v19, v26
	v_fma_f32 v15, v18, v27, -v15
	v_cvt_f64_f32_e32 v[18:19], v15
	v_mul_f64 v[18:19], v[18:19], s[2:3]
	v_cvt_f32_f64_e32 v15, v[18:19]
	v_mov_b32_e32 v18, s4
	v_addc_co_u32_e32 v11, vcc, v11, v18, vcc
	global_store_dwordx2 v[10:11], v[14:15], off
	buffer_load_dword v18, off, s[24:27], 0 offset:64 ; 4-byte Folded Reload
	buffer_load_dword v19, off, s[24:27], 0 offset:68 ; 4-byte Folded Reload
	s_waitcnt vmcnt(0)
	v_mul_f32_e32 v14, v19, v1
	v_fmac_f32_e32 v14, v18, v0
	v_mul_f32_e32 v0, v19, v0
	v_fma_f32 v0, v18, v1, -v0
	v_cvt_f64_f32_e32 v[14:15], v14
	v_cvt_f64_f32_e32 v[0:1], v0
	v_mul_f64 v[14:15], v[14:15], s[2:3]
	v_mul_f64 v[0:1], v[0:1], s[2:3]
	v_cvt_f32_f64_e32 v14, v[14:15]
	v_cvt_f32_f64_e32 v15, v[0:1]
	v_mad_u64_u32 v[0:1], s[6:7], s0, v30, v[10:11]
	v_add_u32_e32 v1, s1, v1
	global_store_dwordx2 v[0:1], v[14:15], off
	buffer_load_dword v14, off, s[24:27], 0 offset:48 ; 4-byte Folded Reload
	s_nop 0
	buffer_load_dword v15, off, s[24:27], 0 offset:52 ; 4-byte Folded Reload
	v_add_co_u32_e32 v0, vcc, s5, v0
	s_waitcnt vmcnt(0)
	v_mul_f32_e32 v10, v15, v13
	v_fmac_f32_e32 v10, v14, v12
	v_cvt_f64_f32_e32 v[10:11], v10
	v_mul_f64 v[10:11], v[10:11], s[2:3]
	v_cvt_f32_f64_e32 v10, v[10:11]
	v_mul_f32_e32 v11, v15, v12
	v_fma_f32 v11, v14, v13, -v11
	v_cvt_f64_f32_e32 v[11:12], v11
	v_mul_f64 v[11:12], v[11:12], s[2:3]
	v_cvt_f32_f64_e32 v11, v[11:12]
	v_mov_b32_e32 v12, s4
	v_addc_co_u32_e32 v1, vcc, v1, v12, vcc
	global_store_dwordx2 v[0:1], v[10:11], off
	buffer_load_dword v11, off, s[24:27], 0 offset:56 ; 4-byte Folded Reload
	s_nop 0
	buffer_load_dword v12, off, s[24:27], 0 offset:60 ; 4-byte Folded Reload
	v_add_co_u32_e32 v0, vcc, s5, v0
	s_waitcnt vmcnt(0)
	v_mul_f32_e32 v10, v12, v3
	v_mov_b32_e32 v13, v12
	v_fmac_f32_e32 v10, v11, v2
	v_mov_b32_e32 v12, v11
	v_mul_f32_e32 v2, v13, v2
	v_fma_f32 v2, v12, v3, -v2
	v_cvt_f64_f32_e32 v[10:11], v10
	v_cvt_f64_f32_e32 v[2:3], v2
	v_mul_f64 v[10:11], v[10:11], s[2:3]
	v_mul_f64 v[2:3], v[2:3], s[2:3]
	v_cvt_f32_f64_e32 v10, v[10:11]
	v_cvt_f32_f64_e32 v11, v[2:3]
	v_mov_b32_e32 v2, s4
	v_addc_co_u32_e32 v1, vcc, v1, v2, vcc
	global_store_dwordx2 v[0:1], v[10:11], off
	buffer_load_dword v10, off, s[24:27], 0 offset:40 ; 4-byte Folded Reload
	s_nop 0
	buffer_load_dword v11, off, s[24:27], 0 offset:44 ; 4-byte Folded Reload
	v_add_co_u32_e32 v0, vcc, s5, v0
	s_waitcnt vmcnt(0)
	v_mul_f32_e32 v2, v11, v17
	v_fmac_f32_e32 v2, v10, v16
	v_cvt_f64_f32_e32 v[2:3], v2
	v_mul_f64 v[2:3], v[2:3], s[2:3]
	v_cvt_f32_f64_e32 v2, v[2:3]
	v_mul_f32_e32 v3, v11, v16
	v_fma_f32 v3, v10, v17, -v3
	v_cvt_f64_f32_e32 v[10:11], v3
	v_mul_f64 v[10:11], v[10:11], s[2:3]
	v_cvt_f32_f64_e32 v3, v[10:11]
	v_mov_b32_e32 v10, s4
	v_addc_co_u32_e32 v1, vcc, v1, v10, vcc
	global_store_dwordx2 v[0:1], v[2:3], off
	buffer_load_dword v10, off, s[24:27], 0 offset:128 ; 4-byte Folded Reload
	buffer_load_dword v11, off, s[24:27], 0 offset:132 ; 4-byte Folded Reload
	v_add_co_u32_e32 v0, vcc, s5, v0
	s_waitcnt vmcnt(0)
	v_mul_f32_e32 v2, v11, v5
	v_fmac_f32_e32 v2, v10, v4
	v_cvt_f64_f32_e32 v[2:3], v2
	v_mul_f64 v[2:3], v[2:3], s[2:3]
	v_cvt_f32_f64_e32 v2, v[2:3]
	v_mul_f32_e32 v3, v11, v4
	v_fma_f32 v3, v10, v5, -v3
	v_cvt_f64_f32_e32 v[3:4], v3
	v_mul_f64 v[3:4], v[3:4], s[2:3]
	v_cvt_f32_f64_e32 v3, v[3:4]
	v_mov_b32_e32 v4, s4
	v_addc_co_u32_e32 v1, vcc, v1, v4, vcc
	global_store_dwordx2 v[0:1], v[2:3], off
	buffer_load_dword v3, off, s[24:27], 0 offset:168 ; 4-byte Folded Reload
	s_nop 0
	buffer_load_dword v4, off, s[24:27], 0 offset:172 ; 4-byte Folded Reload
	v_add_co_u32_e32 v0, vcc, s5, v0
	s_waitcnt vmcnt(0)
	v_mul_f32_e32 v2, v4, v21
	v_fmac_f32_e32 v2, v3, v20
	v_mov_b32_e32 v5, v4
	v_mov_b32_e32 v4, v3
	v_cvt_f64_f32_e32 v[2:3], v2
	v_mul_f64 v[2:3], v[2:3], s[2:3]
	v_cvt_f32_f64_e32 v2, v[2:3]
	v_mul_f32_e32 v3, v5, v20
	v_fma_f32 v3, v4, v21, -v3
	v_cvt_f64_f32_e32 v[3:4], v3
	v_mul_f64 v[3:4], v[3:4], s[2:3]
	v_cvt_f32_f64_e32 v3, v[3:4]
	v_mov_b32_e32 v4, s4
	v_addc_co_u32_e32 v1, vcc, v1, v4, vcc
	global_store_dwordx2 v[0:1], v[2:3], off
	buffer_load_dword v3, off, s[24:27], 0 offset:120 ; 4-byte Folded Reload
	s_nop 0
	buffer_load_dword v4, off, s[24:27], 0 offset:124 ; 4-byte Folded Reload
	v_add_co_u32_e32 v0, vcc, s5, v0
	s_waitcnt vmcnt(0)
	v_mul_f32_e32 v2, v4, v7
	v_fmac_f32_e32 v2, v3, v6
	v_mov_b32_e32 v5, v4
	v_mov_b32_e32 v4, v3
	;; [unrolled: 20-line block ×5, first 2 shown]
	v_cvt_f64_f32_e32 v[2:3], v2
	v_mul_f64 v[2:3], v[2:3], s[2:3]
	v_cvt_f32_f64_e32 v2, v[2:3]
	v_mul_f32_e32 v3, v5, v28
	v_fma_f32 v3, v4, v29, -v3
	v_cvt_f64_f32_e32 v[3:4], v3
	v_mul_f64 v[3:4], v[3:4], s[2:3]
	v_cvt_f32_f64_e32 v3, v[3:4]
	v_mov_b32_e32 v4, s4
	v_addc_co_u32_e32 v1, vcc, v1, v4, vcc
	global_store_dwordx2 v[0:1], v[2:3], off
.LBB0_2:
	s_endpgm
	.section	.rodata,"a",@progbits
	.p2align	6, 0x0
	.amdhsa_kernel bluestein_single_fwd_len3000_dim1_sp_op_CI_CI
		.amdhsa_group_segment_fixed_size 24000
		.amdhsa_private_segment_fixed_size 252
		.amdhsa_kernarg_size 104
		.amdhsa_user_sgpr_count 6
		.amdhsa_user_sgpr_private_segment_buffer 1
		.amdhsa_user_sgpr_dispatch_ptr 0
		.amdhsa_user_sgpr_queue_ptr 0
		.amdhsa_user_sgpr_kernarg_segment_ptr 1
		.amdhsa_user_sgpr_dispatch_id 0
		.amdhsa_user_sgpr_flat_scratch_init 0
		.amdhsa_user_sgpr_private_segment_size 0
		.amdhsa_uses_dynamic_stack 0
		.amdhsa_system_sgpr_private_segment_wavefront_offset 1
		.amdhsa_system_sgpr_workgroup_id_x 1
		.amdhsa_system_sgpr_workgroup_id_y 0
		.amdhsa_system_sgpr_workgroup_id_z 0
		.amdhsa_system_sgpr_workgroup_info 0
		.amdhsa_system_vgpr_workitem_id 0
		.amdhsa_next_free_vgpr 256
		.amdhsa_next_free_sgpr 28
		.amdhsa_reserve_vcc 1
		.amdhsa_reserve_flat_scratch 0
		.amdhsa_float_round_mode_32 0
		.amdhsa_float_round_mode_16_64 0
		.amdhsa_float_denorm_mode_32 3
		.amdhsa_float_denorm_mode_16_64 3
		.amdhsa_dx10_clamp 1
		.amdhsa_ieee_mode 1
		.amdhsa_fp16_overflow 0
		.amdhsa_exception_fp_ieee_invalid_op 0
		.amdhsa_exception_fp_denorm_src 0
		.amdhsa_exception_fp_ieee_div_zero 0
		.amdhsa_exception_fp_ieee_overflow 0
		.amdhsa_exception_fp_ieee_underflow 0
		.amdhsa_exception_fp_ieee_inexact 0
		.amdhsa_exception_int_div_zero 0
	.end_amdhsa_kernel
	.text
.Lfunc_end0:
	.size	bluestein_single_fwd_len3000_dim1_sp_op_CI_CI, .Lfunc_end0-bluestein_single_fwd_len3000_dim1_sp_op_CI_CI
                                        ; -- End function
	.section	.AMDGPU.csdata,"",@progbits
; Kernel info:
; codeLenInByte = 32252
; NumSgprs: 32
; NumVgprs: 256
; ScratchSize: 252
; MemoryBound: 0
; FloatMode: 240
; IeeeMode: 1
; LDSByteSize: 24000 bytes/workgroup (compile time only)
; SGPRBlocks: 3
; VGPRBlocks: 63
; NumSGPRsForWavesPerEU: 32
; NumVGPRsForWavesPerEU: 256
; Occupancy: 1
; WaveLimiterHint : 1
; COMPUTE_PGM_RSRC2:SCRATCH_EN: 1
; COMPUTE_PGM_RSRC2:USER_SGPR: 6
; COMPUTE_PGM_RSRC2:TRAP_HANDLER: 0
; COMPUTE_PGM_RSRC2:TGID_X_EN: 1
; COMPUTE_PGM_RSRC2:TGID_Y_EN: 0
; COMPUTE_PGM_RSRC2:TGID_Z_EN: 0
; COMPUTE_PGM_RSRC2:TIDIG_COMP_CNT: 0
	.type	__hip_cuid_7e1b3b5e1d3e997e,@object ; @__hip_cuid_7e1b3b5e1d3e997e
	.section	.bss,"aw",@nobits
	.globl	__hip_cuid_7e1b3b5e1d3e997e
__hip_cuid_7e1b3b5e1d3e997e:
	.byte	0                               ; 0x0
	.size	__hip_cuid_7e1b3b5e1d3e997e, 1

	.ident	"AMD clang version 19.0.0git (https://github.com/RadeonOpenCompute/llvm-project roc-6.4.0 25133 c7fe45cf4b819c5991fe208aaa96edf142730f1d)"
	.section	".note.GNU-stack","",@progbits
	.addrsig
	.addrsig_sym __hip_cuid_7e1b3b5e1d3e997e
	.amdgpu_metadata
---
amdhsa.kernels:
  - .args:
      - .actual_access:  read_only
        .address_space:  global
        .offset:         0
        .size:           8
        .value_kind:     global_buffer
      - .actual_access:  read_only
        .address_space:  global
        .offset:         8
        .size:           8
        .value_kind:     global_buffer
      - .actual_access:  read_only
        .address_space:  global
        .offset:         16
        .size:           8
        .value_kind:     global_buffer
      - .actual_access:  read_only
        .address_space:  global
        .offset:         24
        .size:           8
        .value_kind:     global_buffer
      - .actual_access:  read_only
        .address_space:  global
        .offset:         32
        .size:           8
        .value_kind:     global_buffer
      - .offset:         40
        .size:           8
        .value_kind:     by_value
      - .address_space:  global
        .offset:         48
        .size:           8
        .value_kind:     global_buffer
      - .address_space:  global
        .offset:         56
        .size:           8
        .value_kind:     global_buffer
      - .address_space:  global
        .offset:         64
        .size:           8
        .value_kind:     global_buffer
      - .address_space:  global
        .offset:         72
        .size:           8
        .value_kind:     global_buffer
      - .offset:         80
        .size:           4
        .value_kind:     by_value
      - .address_space:  global
        .offset:         88
        .size:           8
        .value_kind:     global_buffer
      - .address_space:  global
        .offset:         96
        .size:           8
        .value_kind:     global_buffer
    .group_segment_fixed_size: 24000
    .kernarg_segment_align: 8
    .kernarg_segment_size: 104
    .language:       OpenCL C
    .language_version:
      - 2
      - 0
    .max_flat_workgroup_size: 100
    .name:           bluestein_single_fwd_len3000_dim1_sp_op_CI_CI
    .private_segment_fixed_size: 252
    .sgpr_count:     32
    .sgpr_spill_count: 0
    .symbol:         bluestein_single_fwd_len3000_dim1_sp_op_CI_CI.kd
    .uniform_work_group_size: 1
    .uses_dynamic_stack: false
    .vgpr_count:     256
    .vgpr_spill_count: 62
    .wavefront_size: 64
amdhsa.target:   amdgcn-amd-amdhsa--gfx906
amdhsa.version:
  - 1
  - 2
...

	.end_amdgpu_metadata
